;; amdgpu-corpus repo=ROCm/rocFFT kind=compiled arch=gfx1100 opt=O3
	.text
	.amdgcn_target "amdgcn-amd-amdhsa--gfx1100"
	.amdhsa_code_object_version 6
	.protected	fft_rtc_back_len3375_factors_5_5_5_3_3_3_wgs_225_tpt_225_halfLds_sp_ip_CI_sbrr_dirReg ; -- Begin function fft_rtc_back_len3375_factors_5_5_5_3_3_3_wgs_225_tpt_225_halfLds_sp_ip_CI_sbrr_dirReg
	.globl	fft_rtc_back_len3375_factors_5_5_5_3_3_3_wgs_225_tpt_225_halfLds_sp_ip_CI_sbrr_dirReg
	.p2align	8
	.type	fft_rtc_back_len3375_factors_5_5_5_3_3_3_wgs_225_tpt_225_halfLds_sp_ip_CI_sbrr_dirReg,@function
fft_rtc_back_len3375_factors_5_5_5_3_3_3_wgs_225_tpt_225_halfLds_sp_ip_CI_sbrr_dirReg: ; @fft_rtc_back_len3375_factors_5_5_5_3_3_3_wgs_225_tpt_225_halfLds_sp_ip_CI_sbrr_dirReg
; %bb.0:
	s_clause 0x2
	s_load_b64 s[12:13], s[0:1], 0x18
	s_load_b128 s[4:7], s[0:1], 0x0
	s_load_b64 s[10:11], s[0:1], 0x50
	v_mul_u32_u24_e32 v1, 0x124, v0
	v_mov_b32_e32 v3, 0
	v_mov_b32_e32 v4, 0
	s_delay_alu instid0(VALU_DEP_3) | instskip(SKIP_1) | instid1(VALU_DEP_1)
	v_lshrrev_b32_e32 v2, 16, v1
	v_mov_b32_e32 v1, 0
	v_dual_mov_b32 v6, v1 :: v_dual_add_nc_u32 v5, s15, v2
	s_waitcnt lgkmcnt(0)
	s_load_b64 s[8:9], s[12:13], 0x0
	v_cmp_lt_u64_e64 s2, s[6:7], 2
	s_delay_alu instid0(VALU_DEP_1)
	s_and_b32 vcc_lo, exec_lo, s2
	s_cbranch_vccnz .LBB0_8
; %bb.1:
	s_load_b64 s[2:3], s[0:1], 0x10
	v_mov_b32_e32 v3, 0
	s_add_u32 s14, s12, 8
	v_mov_b32_e32 v4, 0
	s_addc_u32 s15, s13, 0
	s_mov_b64 s[18:19], 1
	s_waitcnt lgkmcnt(0)
	s_add_u32 s16, s2, 8
	s_addc_u32 s17, s3, 0
.LBB0_2:                                ; =>This Inner Loop Header: Depth=1
	s_load_b64 s[20:21], s[16:17], 0x0
                                        ; implicit-def: $vgpr7_vgpr8
	s_mov_b32 s2, exec_lo
	s_waitcnt lgkmcnt(0)
	v_or_b32_e32 v2, s21, v6
	s_delay_alu instid0(VALU_DEP_1)
	v_cmpx_ne_u64_e32 0, v[1:2]
	s_xor_b32 s3, exec_lo, s2
	s_cbranch_execz .LBB0_4
; %bb.3:                                ;   in Loop: Header=BB0_2 Depth=1
	v_cvt_f32_u32_e32 v2, s20
	v_cvt_f32_u32_e32 v7, s21
	s_sub_u32 s2, 0, s20
	s_subb_u32 s22, 0, s21
	s_delay_alu instid0(VALU_DEP_1) | instskip(NEXT) | instid1(VALU_DEP_1)
	v_fmac_f32_e32 v2, 0x4f800000, v7
	v_rcp_f32_e32 v2, v2
	s_waitcnt_depctr 0xfff
	v_mul_f32_e32 v2, 0x5f7ffffc, v2
	s_delay_alu instid0(VALU_DEP_1) | instskip(NEXT) | instid1(VALU_DEP_1)
	v_mul_f32_e32 v7, 0x2f800000, v2
	v_trunc_f32_e32 v7, v7
	s_delay_alu instid0(VALU_DEP_1) | instskip(SKIP_1) | instid1(VALU_DEP_2)
	v_fmac_f32_e32 v2, 0xcf800000, v7
	v_cvt_u32_f32_e32 v7, v7
	v_cvt_u32_f32_e32 v2, v2
	s_delay_alu instid0(VALU_DEP_2) | instskip(NEXT) | instid1(VALU_DEP_2)
	v_mul_lo_u32 v8, s2, v7
	v_mul_hi_u32 v9, s2, v2
	v_mul_lo_u32 v10, s22, v2
	s_delay_alu instid0(VALU_DEP_2) | instskip(SKIP_1) | instid1(VALU_DEP_2)
	v_add_nc_u32_e32 v8, v9, v8
	v_mul_lo_u32 v9, s2, v2
	v_add_nc_u32_e32 v8, v8, v10
	s_delay_alu instid0(VALU_DEP_2) | instskip(NEXT) | instid1(VALU_DEP_2)
	v_mul_hi_u32 v10, v2, v9
	v_mul_lo_u32 v11, v2, v8
	v_mul_hi_u32 v12, v2, v8
	v_mul_hi_u32 v13, v7, v9
	v_mul_lo_u32 v9, v7, v9
	v_mul_hi_u32 v14, v7, v8
	v_mul_lo_u32 v8, v7, v8
	v_add_co_u32 v10, vcc_lo, v10, v11
	v_add_co_ci_u32_e32 v11, vcc_lo, 0, v12, vcc_lo
	s_delay_alu instid0(VALU_DEP_2) | instskip(NEXT) | instid1(VALU_DEP_2)
	v_add_co_u32 v9, vcc_lo, v10, v9
	v_add_co_ci_u32_e32 v9, vcc_lo, v11, v13, vcc_lo
	v_add_co_ci_u32_e32 v10, vcc_lo, 0, v14, vcc_lo
	s_delay_alu instid0(VALU_DEP_2) | instskip(NEXT) | instid1(VALU_DEP_2)
	v_add_co_u32 v8, vcc_lo, v9, v8
	v_add_co_ci_u32_e32 v9, vcc_lo, 0, v10, vcc_lo
	s_delay_alu instid0(VALU_DEP_2) | instskip(NEXT) | instid1(VALU_DEP_2)
	v_add_co_u32 v2, vcc_lo, v2, v8
	v_add_co_ci_u32_e32 v7, vcc_lo, v7, v9, vcc_lo
	s_delay_alu instid0(VALU_DEP_2) | instskip(SKIP_1) | instid1(VALU_DEP_3)
	v_mul_hi_u32 v8, s2, v2
	v_mul_lo_u32 v10, s22, v2
	v_mul_lo_u32 v9, s2, v7
	s_delay_alu instid0(VALU_DEP_1) | instskip(SKIP_1) | instid1(VALU_DEP_2)
	v_add_nc_u32_e32 v8, v8, v9
	v_mul_lo_u32 v9, s2, v2
	v_add_nc_u32_e32 v8, v8, v10
	s_delay_alu instid0(VALU_DEP_2) | instskip(NEXT) | instid1(VALU_DEP_2)
	v_mul_hi_u32 v10, v2, v9
	v_mul_lo_u32 v11, v2, v8
	v_mul_hi_u32 v12, v2, v8
	v_mul_hi_u32 v13, v7, v9
	v_mul_lo_u32 v9, v7, v9
	v_mul_hi_u32 v14, v7, v8
	v_mul_lo_u32 v8, v7, v8
	v_add_co_u32 v10, vcc_lo, v10, v11
	v_add_co_ci_u32_e32 v11, vcc_lo, 0, v12, vcc_lo
	s_delay_alu instid0(VALU_DEP_2) | instskip(NEXT) | instid1(VALU_DEP_2)
	v_add_co_u32 v9, vcc_lo, v10, v9
	v_add_co_ci_u32_e32 v9, vcc_lo, v11, v13, vcc_lo
	v_add_co_ci_u32_e32 v10, vcc_lo, 0, v14, vcc_lo
	s_delay_alu instid0(VALU_DEP_2) | instskip(NEXT) | instid1(VALU_DEP_2)
	v_add_co_u32 v8, vcc_lo, v9, v8
	v_add_co_ci_u32_e32 v9, vcc_lo, 0, v10, vcc_lo
	s_delay_alu instid0(VALU_DEP_2) | instskip(NEXT) | instid1(VALU_DEP_2)
	v_add_co_u32 v2, vcc_lo, v2, v8
	v_add_co_ci_u32_e32 v13, vcc_lo, v7, v9, vcc_lo
	s_delay_alu instid0(VALU_DEP_2) | instskip(SKIP_1) | instid1(VALU_DEP_3)
	v_mul_hi_u32 v14, v5, v2
	v_mad_u64_u32 v[9:10], null, v6, v2, 0
	v_mad_u64_u32 v[7:8], null, v5, v13, 0
	;; [unrolled: 1-line block ×3, first 2 shown]
	s_delay_alu instid0(VALU_DEP_2) | instskip(NEXT) | instid1(VALU_DEP_3)
	v_add_co_u32 v2, vcc_lo, v14, v7
	v_add_co_ci_u32_e32 v7, vcc_lo, 0, v8, vcc_lo
	s_delay_alu instid0(VALU_DEP_2) | instskip(NEXT) | instid1(VALU_DEP_2)
	v_add_co_u32 v2, vcc_lo, v2, v9
	v_add_co_ci_u32_e32 v2, vcc_lo, v7, v10, vcc_lo
	v_add_co_ci_u32_e32 v7, vcc_lo, 0, v12, vcc_lo
	s_delay_alu instid0(VALU_DEP_2) | instskip(NEXT) | instid1(VALU_DEP_2)
	v_add_co_u32 v2, vcc_lo, v2, v11
	v_add_co_ci_u32_e32 v9, vcc_lo, 0, v7, vcc_lo
	s_delay_alu instid0(VALU_DEP_2) | instskip(SKIP_1) | instid1(VALU_DEP_3)
	v_mul_lo_u32 v10, s21, v2
	v_mad_u64_u32 v[7:8], null, s20, v2, 0
	v_mul_lo_u32 v11, s20, v9
	s_delay_alu instid0(VALU_DEP_2) | instskip(NEXT) | instid1(VALU_DEP_2)
	v_sub_co_u32 v7, vcc_lo, v5, v7
	v_add3_u32 v8, v8, v11, v10
	s_delay_alu instid0(VALU_DEP_1) | instskip(NEXT) | instid1(VALU_DEP_1)
	v_sub_nc_u32_e32 v10, v6, v8
	v_subrev_co_ci_u32_e64 v10, s2, s21, v10, vcc_lo
	v_add_co_u32 v11, s2, v2, 2
	s_delay_alu instid0(VALU_DEP_1) | instskip(SKIP_3) | instid1(VALU_DEP_3)
	v_add_co_ci_u32_e64 v12, s2, 0, v9, s2
	v_sub_co_u32 v13, s2, v7, s20
	v_sub_co_ci_u32_e32 v8, vcc_lo, v6, v8, vcc_lo
	v_subrev_co_ci_u32_e64 v10, s2, 0, v10, s2
	v_cmp_le_u32_e32 vcc_lo, s20, v13
	s_delay_alu instid0(VALU_DEP_3) | instskip(SKIP_1) | instid1(VALU_DEP_4)
	v_cmp_eq_u32_e64 s2, s21, v8
	v_cndmask_b32_e64 v13, 0, -1, vcc_lo
	v_cmp_le_u32_e32 vcc_lo, s21, v10
	v_cndmask_b32_e64 v14, 0, -1, vcc_lo
	v_cmp_le_u32_e32 vcc_lo, s20, v7
	;; [unrolled: 2-line block ×3, first 2 shown]
	v_cndmask_b32_e64 v15, 0, -1, vcc_lo
	v_cmp_eq_u32_e32 vcc_lo, s21, v10
	s_delay_alu instid0(VALU_DEP_2) | instskip(SKIP_3) | instid1(VALU_DEP_3)
	v_cndmask_b32_e64 v7, v15, v7, s2
	v_cndmask_b32_e32 v10, v14, v13, vcc_lo
	v_add_co_u32 v13, vcc_lo, v2, 1
	v_add_co_ci_u32_e32 v14, vcc_lo, 0, v9, vcc_lo
	v_cmp_ne_u32_e32 vcc_lo, 0, v10
	s_delay_alu instid0(VALU_DEP_2) | instskip(NEXT) | instid1(VALU_DEP_4)
	v_cndmask_b32_e32 v8, v14, v12, vcc_lo
	v_cndmask_b32_e32 v10, v13, v11, vcc_lo
	v_cmp_ne_u32_e32 vcc_lo, 0, v7
	s_delay_alu instid0(VALU_DEP_2)
	v_dual_cndmask_b32 v7, v2, v10 :: v_dual_cndmask_b32 v8, v9, v8
.LBB0_4:                                ;   in Loop: Header=BB0_2 Depth=1
	s_and_not1_saveexec_b32 s2, s3
	s_cbranch_execz .LBB0_6
; %bb.5:                                ;   in Loop: Header=BB0_2 Depth=1
	v_cvt_f32_u32_e32 v2, s20
	s_sub_i32 s3, 0, s20
	s_delay_alu instid0(VALU_DEP_1) | instskip(SKIP_2) | instid1(VALU_DEP_1)
	v_rcp_iflag_f32_e32 v2, v2
	s_waitcnt_depctr 0xfff
	v_mul_f32_e32 v2, 0x4f7ffffe, v2
	v_cvt_u32_f32_e32 v2, v2
	s_delay_alu instid0(VALU_DEP_1) | instskip(NEXT) | instid1(VALU_DEP_1)
	v_mul_lo_u32 v7, s3, v2
	v_mul_hi_u32 v7, v2, v7
	s_delay_alu instid0(VALU_DEP_1) | instskip(NEXT) | instid1(VALU_DEP_1)
	v_add_nc_u32_e32 v2, v2, v7
	v_mul_hi_u32 v2, v5, v2
	s_delay_alu instid0(VALU_DEP_1) | instskip(SKIP_1) | instid1(VALU_DEP_2)
	v_mul_lo_u32 v7, v2, s20
	v_add_nc_u32_e32 v8, 1, v2
	v_sub_nc_u32_e32 v7, v5, v7
	s_delay_alu instid0(VALU_DEP_1) | instskip(SKIP_1) | instid1(VALU_DEP_2)
	v_subrev_nc_u32_e32 v9, s20, v7
	v_cmp_le_u32_e32 vcc_lo, s20, v7
	v_dual_cndmask_b32 v7, v7, v9 :: v_dual_cndmask_b32 v2, v2, v8
	s_delay_alu instid0(VALU_DEP_1) | instskip(NEXT) | instid1(VALU_DEP_2)
	v_cmp_le_u32_e32 vcc_lo, s20, v7
	v_add_nc_u32_e32 v8, 1, v2
	s_delay_alu instid0(VALU_DEP_1)
	v_dual_cndmask_b32 v7, v2, v8 :: v_dual_mov_b32 v8, v1
.LBB0_6:                                ;   in Loop: Header=BB0_2 Depth=1
	s_or_b32 exec_lo, exec_lo, s2
	s_load_b64 s[2:3], s[14:15], 0x0
	s_delay_alu instid0(VALU_DEP_1) | instskip(NEXT) | instid1(VALU_DEP_2)
	v_mul_lo_u32 v2, v8, s20
	v_mul_lo_u32 v11, v7, s21
	v_mad_u64_u32 v[9:10], null, v7, s20, 0
	s_add_u32 s18, s18, 1
	s_addc_u32 s19, s19, 0
	s_add_u32 s14, s14, 8
	s_addc_u32 s15, s15, 0
	;; [unrolled: 2-line block ×3, first 2 shown]
	s_delay_alu instid0(VALU_DEP_1) | instskip(SKIP_1) | instid1(VALU_DEP_2)
	v_add3_u32 v2, v10, v11, v2
	v_sub_co_u32 v9, vcc_lo, v5, v9
	v_sub_co_ci_u32_e32 v2, vcc_lo, v6, v2, vcc_lo
	s_waitcnt lgkmcnt(0)
	s_delay_alu instid0(VALU_DEP_2) | instskip(NEXT) | instid1(VALU_DEP_2)
	v_mul_lo_u32 v10, s3, v9
	v_mul_lo_u32 v2, s2, v2
	v_mad_u64_u32 v[5:6], null, s2, v9, v[3:4]
	v_cmp_ge_u64_e64 s2, s[18:19], s[6:7]
	s_delay_alu instid0(VALU_DEP_1) | instskip(NEXT) | instid1(VALU_DEP_2)
	s_and_b32 vcc_lo, exec_lo, s2
	v_add3_u32 v4, v10, v6, v2
	s_delay_alu instid0(VALU_DEP_3)
	v_mov_b32_e32 v3, v5
	s_cbranch_vccnz .LBB0_9
; %bb.7:                                ;   in Loop: Header=BB0_2 Depth=1
	v_dual_mov_b32 v5, v7 :: v_dual_mov_b32 v6, v8
	s_branch .LBB0_2
.LBB0_8:
	v_dual_mov_b32 v8, v6 :: v_dual_mov_b32 v7, v5
.LBB0_9:
	s_lshl_b64 s[2:3], s[6:7], 3
	v_mul_hi_u32 v1, 0x1234568, v0
	s_add_u32 s2, s12, s2
	s_addc_u32 s3, s13, s3
	s_load_b64 s[0:1], s[0:1], 0x20
	s_load_b64 s[2:3], s[2:3], 0x0
                                        ; implicit-def: $vgpr47
                                        ; implicit-def: $vgpr48
                                        ; implicit-def: $vgpr49
                                        ; implicit-def: $vgpr50
	s_delay_alu instid0(VALU_DEP_1) | instskip(NEXT) | instid1(VALU_DEP_1)
	v_mul_u32_u24_e32 v1, 0xe1, v1
	v_sub_nc_u32_e32 v36, v0, v1
	s_delay_alu instid0(VALU_DEP_1)
	v_add_nc_u32_e32 v38, 0xe1, v36
	v_add_nc_u32_e32 v35, 0x1c2, v36
	;; [unrolled: 1-line block ×4, first 2 shown]
	s_waitcnt lgkmcnt(0)
	v_cmp_gt_u64_e32 vcc_lo, s[0:1], v[7:8]
	v_mul_lo_u32 v2, s2, v8
	v_mul_lo_u32 v5, s3, v7
	v_mad_u64_u32 v[0:1], null, s2, v7, v[3:4]
	v_cmp_le_u64_e64 s0, s[0:1], v[7:8]
	s_delay_alu instid0(VALU_DEP_2) | instskip(NEXT) | instid1(VALU_DEP_2)
	v_add3_u32 v1, v5, v1, v2
	s_and_saveexec_b32 s1, s0
	s_delay_alu instid0(SALU_CYCLE_1)
	s_xor_b32 s0, exec_lo, s1
; %bb.10:
	v_add_nc_u32_e32 v47, 0xe1, v36
	v_add_nc_u32_e32 v48, 0x1c2, v36
	;; [unrolled: 1-line block ×4, first 2 shown]
; %bb.11:
	s_or_saveexec_b32 s1, s0
	v_lshlrev_b64 v[20:21], 3, v[0:1]
	v_add_nc_u32_e32 v43, 0x546, v36
	v_add_nc_u32_e32 v40, 0xa8c, v36
	v_add_nc_u32_e32 v41, 0x627, v36
	v_add_nc_u32_e32 v44, 0x8ca, v36
	v_add_nc_u32_e32 v39, 0xb6d, v36
	v_add_nc_u32_e32 v46, 0x465, v36
	v_add_nc_u32_e32 v42, 0x708, v36
	v_add_nc_u32_e32 v45, 0x9ab, v36
                                        ; implicit-def: $vgpr13
                                        ; implicit-def: $vgpr7
                                        ; implicit-def: $vgpr11
                                        ; implicit-def: $vgpr9
                                        ; implicit-def: $vgpr5
                                        ; implicit-def: $vgpr29
                                        ; implicit-def: $vgpr27
                                        ; implicit-def: $vgpr17
                                        ; implicit-def: $vgpr15
                                        ; implicit-def: $vgpr3
                                        ; implicit-def: $vgpr31
                                        ; implicit-def: $vgpr19
                                        ; implicit-def: $vgpr25
                                        ; implicit-def: $vgpr23
                                        ; implicit-def: $vgpr1
	s_xor_b32 exec_lo, exec_lo, s1
	s_cbranch_execz .LBB0_13
; %bb.12:
	v_mad_u64_u32 v[0:1], null, s8, v36, 0
	v_mad_u64_u32 v[2:3], null, s8, v34, 0
	v_add_co_u32 v51, s0, s10, v20
	s_delay_alu instid0(VALU_DEP_1) | instskip(SKIP_1) | instid1(VALU_DEP_4)
	v_add_co_ci_u32_e64 v52, s0, s11, v21, s0
	v_mad_u64_u32 v[12:13], null, s8, v38, 0
	v_mad_u64_u32 v[4:5], null, s9, v36, v[1:2]
	;; [unrolled: 1-line block ×3, first 2 shown]
	v_add_nc_u32_e32 v11, 0x7e9, v36
	v_mov_b32_e32 v1, v3
	v_mad_u64_u32 v[26:27], null, s8, v41, 0
	v_mad_u64_u32 v[32:33], null, s8, v46, 0
	s_delay_alu instid0(VALU_DEP_3) | instskip(SKIP_3) | instid1(VALU_DEP_2)
	v_mad_u64_u32 v[9:10], null, s9, v34, v[1:2]
	v_dual_mov_b32 v1, v4 :: v_dual_mov_b32 v4, v6
	v_mad_u64_u32 v[7:8], null, s8, v11, 0
	v_add_nc_u32_e32 v49, 0xc4e, v36
	v_dual_mov_b32 v3, v9 :: v_dual_mov_b32 v6, v8
	s_delay_alu instid0(VALU_DEP_4) | instskip(NEXT) | instid1(VALU_DEP_2)
	v_mad_u64_u32 v[8:9], null, s9, v43, v[4:5]
	v_mad_u64_u32 v[9:10], null, s9, v11, v[6:7]
	v_mad_u64_u32 v[10:11], null, s8, v40, 0
	s_delay_alu instid0(VALU_DEP_3) | instskip(SKIP_1) | instid1(VALU_DEP_4)
	v_mov_b32_e32 v6, v8
	v_lshlrev_b64 v[2:3], 3, v[2:3]
	v_mov_b32_e32 v8, v9
	v_lshlrev_b64 v[0:1], 3, v[0:1]
	s_delay_alu instid0(VALU_DEP_4) | instskip(SKIP_1) | instid1(VALU_DEP_4)
	v_lshlrev_b64 v[4:5], 3, v[5:6]
	v_mov_b32_e32 v6, v11
	v_lshlrev_b64 v[7:8], 3, v[7:8]
	s_delay_alu instid0(VALU_DEP_4) | instskip(NEXT) | instid1(VALU_DEP_1)
	v_add_co_u32 v0, s0, v51, v0
	v_add_co_ci_u32_e64 v1, s0, v52, v1, s0
	v_add_co_u32 v2, s0, v51, v2
	s_delay_alu instid0(VALU_DEP_1)
	v_add_co_ci_u32_e64 v3, s0, v52, v3, s0
	v_add_co_u32 v4, s0, v51, v4
	v_mad_u64_u32 v[14:15], null, s9, v40, v[6:7]
	v_add_co_ci_u32_e64 v5, s0, v52, v5, s0
	v_mov_b32_e32 v6, v13
	v_mad_u64_u32 v[15:16], null, s8, v37, 0
	v_add_co_u32 v7, s0, v51, v7
	v_mov_b32_e32 v11, v14
	v_add_co_ci_u32_e64 v8, s0, v52, v8, s0
	s_delay_alu instid0(VALU_DEP_3)
	v_mad_u64_u32 v[13:14], null, s9, v38, v[6:7]
	v_mov_b32_e32 v6, v16
	s_clause 0x3
	global_load_b64 v[0:1], v[0:1], off
	global_load_b64 v[22:23], v[2:3], off
	;; [unrolled: 1-line block ×4, first 2 shown]
	v_lshlrev_b64 v[2:3], 3, v[10:11]
	v_mad_u64_u32 v[4:5], null, s9, v37, v[6:7]
	v_lshlrev_b64 v[6:7], 3, v[12:13]
	v_mov_b32_e32 v5, v27
	s_delay_alu instid0(VALU_DEP_4) | instskip(NEXT) | instid1(VALU_DEP_1)
	v_add_co_u32 v2, s0, v51, v2
	v_add_co_ci_u32_e64 v3, s0, v52, v3, s0
	s_delay_alu instid0(VALU_DEP_3) | instskip(SKIP_3) | instid1(VALU_DEP_1)
	v_mad_u64_u32 v[8:9], null, s9, v41, v[5:6]
	v_mad_u64_u32 v[9:10], null, s8, v44, 0
	v_mov_b32_e32 v16, v4
	v_add_co_u32 v4, s0, v51, v6
	v_add_co_ci_u32_e64 v5, s0, v52, v7, s0
	s_delay_alu instid0(VALU_DEP_4) | instskip(NEXT) | instid1(VALU_DEP_4)
	v_dual_mov_b32 v27, v8 :: v_dual_mov_b32 v8, v10
	v_lshlrev_b64 v[6:7], 3, v[15:16]
	v_mad_u64_u32 v[11:12], null, s8, v39, 0
	s_delay_alu instid0(VALU_DEP_3) | instskip(NEXT) | instid1(VALU_DEP_4)
	v_lshlrev_b64 v[13:14], 3, v[26:27]
	v_mad_u64_u32 v[15:16], null, s9, v44, v[8:9]
	s_delay_alu instid0(VALU_DEP_4) | instskip(NEXT) | instid1(VALU_DEP_1)
	v_add_co_u32 v6, s0, v51, v6
	v_add_co_ci_u32_e64 v7, s0, v52, v7, s0
	v_mov_b32_e32 v8, v12
	v_add_co_u32 v12, s0, v51, v13
	s_delay_alu instid0(VALU_DEP_1)
	v_add_co_ci_u32_e64 v13, s0, v52, v14, s0
	v_mov_b32_e32 v10, v15
	s_clause 0x3
	global_load_b64 v[30:31], v[2:3], off
	global_load_b64 v[2:3], v[4:5], off
	;; [unrolled: 1-line block ×4, first 2 shown]
	v_mad_u64_u32 v[26:27], null, s8, v35, 0
	v_mad_u64_u32 v[28:29], null, s9, v39, v[8:9]
	v_lshlrev_b64 v[4:5], 3, v[9:10]
	s_delay_alu instid0(VALU_DEP_3) | instskip(NEXT) | instid1(VALU_DEP_2)
	v_mov_b32_e32 v8, v27
	v_add_co_u32 v4, s0, v51, v4
	s_delay_alu instid0(VALU_DEP_1) | instskip(NEXT) | instid1(VALU_DEP_3)
	v_add_co_ci_u32_e64 v5, s0, v52, v5, s0
	v_mad_u64_u32 v[6:7], null, s9, v35, v[8:9]
	v_mad_u64_u32 v[8:9], null, s8, v42, 0
	v_mov_b32_e32 v7, v33
	s_delay_alu instid0(VALU_DEP_2) | instskip(NEXT) | instid1(VALU_DEP_1)
	v_dual_mov_b32 v27, v6 :: v_dual_mov_b32 v6, v9
	v_lshlrev_b64 v[26:27], 3, v[26:27]
	s_delay_alu instid0(VALU_DEP_2) | instskip(SKIP_2) | instid1(VALU_DEP_3)
	v_mad_u64_u32 v[47:48], null, s9, v42, v[6:7]
	v_mov_b32_e32 v12, v28
	v_mad_u64_u32 v[28:29], null, s8, v45, 0
	v_mov_b32_e32 v9, v47
	s_delay_alu instid0(VALU_DEP_3) | instskip(SKIP_3) | instid1(VALU_DEP_4)
	v_lshlrev_b64 v[10:11], 3, v[11:12]
	v_mad_u64_u32 v[12:13], null, s9, v46, v[7:8]
	v_mad_u64_u32 v[6:7], null, s8, v49, 0
	v_mov_b32_e32 v13, v29
	v_add_co_u32 v10, s0, v51, v10
	s_delay_alu instid0(VALU_DEP_1)
	v_add_co_ci_u32_e64 v11, s0, v52, v11, s0
	v_mov_b32_e32 v33, v12
	v_add_co_u32 v12, s0, v51, v26
	s_waitcnt vmcnt(1)
	v_mad_u64_u32 v[47:48], null, s9, v45, v[13:14]
	v_add_co_ci_u32_e64 v13, s0, v52, v27, s0
	v_lshlrev_b64 v[26:27], 3, v[32:33]
	v_mad_u64_u32 v[32:33], null, s9, v49, v[7:8]
	v_lshlrev_b64 v[8:9], 3, v[8:9]
	v_mov_b32_e32 v29, v47
	s_delay_alu instid0(VALU_DEP_4) | instskip(NEXT) | instid1(VALU_DEP_1)
	v_add_co_u32 v47, s0, v51, v26
	v_add_co_ci_u32_e64 v48, s0, v52, v27, s0
	v_mov_b32_e32 v7, v32
	s_delay_alu instid0(VALU_DEP_4) | instskip(SKIP_1) | instid1(VALU_DEP_1)
	v_lshlrev_b64 v[26:27], 3, v[28:29]
	v_add_co_u32 v32, s0, v51, v8
	v_add_co_ci_u32_e64 v33, s0, v52, v9, s0
	s_delay_alu instid0(VALU_DEP_4) | instskip(NEXT) | instid1(VALU_DEP_4)
	v_lshlrev_b64 v[6:7], 3, v[6:7]
	v_add_co_u32 v49, s0, v51, v26
	s_delay_alu instid0(VALU_DEP_1) | instskip(NEXT) | instid1(VALU_DEP_3)
	v_add_co_ci_u32_e64 v50, s0, v52, v27, s0
	v_add_co_u32 v51, s0, v51, v6
	s_delay_alu instid0(VALU_DEP_1)
	v_add_co_ci_u32_e64 v52, s0, v52, v7, s0
	s_clause 0x6
	global_load_b64 v[26:27], v[4:5], off
	global_load_b64 v[28:29], v[10:11], off
	;; [unrolled: 1-line block ×7, first 2 shown]
	v_dual_mov_b32 v50, v37 :: v_dual_mov_b32 v49, v34
	v_dual_mov_b32 v48, v35 :: v_dual_mov_b32 v47, v38
.LBB0_13:
	s_or_b32 exec_lo, exec_lo, s1
	v_dual_add_f32 v32, v18, v24 :: v_dual_sub_f32 v51, v23, v31
	v_dual_add_f32 v33, v22, v0 :: v_dual_sub_f32 v52, v25, v19
	v_dual_sub_f32 v53, v22, v24 :: v_dual_sub_f32 v56, v24, v22
	s_delay_alu instid0(VALU_DEP_3) | instskip(NEXT) | instid1(VALU_DEP_3)
	v_fma_f32 v32, -0.5, v32, v0
	v_dual_sub_f32 v54, v30, v18 :: v_dual_add_f32 v33, v24, v33
	v_add_f32_e32 v55, v30, v22
	v_dual_add_f32 v59, v19, v25 :: v_dual_sub_f32 v22, v22, v30
	s_delay_alu instid0(VALU_DEP_4) | instskip(NEXT) | instid1(VALU_DEP_4)
	v_fmamk_f32 v57, v51, 0xbf737871, v32
	v_dual_fmac_f32 v32, 0x3f737871, v51 :: v_dual_add_f32 v53, v54, v53
	s_delay_alu instid0(VALU_DEP_4) | instskip(SKIP_1) | instid1(VALU_DEP_3)
	v_dual_fmac_f32 v0, -0.5, v55 :: v_dual_add_f32 v33, v18, v33
	v_sub_f32_e32 v54, v18, v30
	v_fmac_f32_e32 v32, 0x3f167918, v52
	v_dual_fmac_f32 v57, 0xbf167918, v52 :: v_dual_add_f32 v58, v23, v1
	s_delay_alu instid0(VALU_DEP_3) | instskip(SKIP_2) | instid1(VALU_DEP_4)
	v_dual_fmamk_f32 v55, v52, 0x3f737871, v0 :: v_dual_add_f32 v54, v54, v56
	v_dual_add_f32 v33, v30, v33 :: v_dual_fmac_f32 v0, 0xbf737871, v52
	v_fma_f32 v59, -0.5, v59, v1
	v_dual_fmac_f32 v57, 0x3e9e377a, v53 :: v_dual_add_f32 v52, v25, v58
	s_delay_alu instid0(VALU_DEP_4) | instskip(NEXT) | instid1(VALU_DEP_4)
	v_fmac_f32_e32 v55, 0xbf167918, v51
	v_fmac_f32_e32 v0, 0x3f167918, v51
	s_delay_alu instid0(VALU_DEP_4) | instskip(NEXT) | instid1(VALU_DEP_4)
	v_dual_fmamk_f32 v60, v22, 0x3f737871, v59 :: v_dual_add_f32 v51, v31, v23
	v_add_f32_e32 v30, v19, v52
	v_sub_f32_e32 v18, v24, v18
	v_dual_sub_f32 v24, v23, v25 :: v_dual_fmac_f32 v59, 0xbf737871, v22
	s_delay_alu instid0(VALU_DEP_4) | instskip(SKIP_3) | instid1(VALU_DEP_3)
	v_fmac_f32_e32 v1, -0.5, v51
	v_sub_f32_e32 v52, v31, v19
	v_dual_add_f32 v30, v31, v30 :: v_dual_sub_f32 v23, v25, v23
	v_dual_sub_f32 v19, v19, v31 :: v_dual_fmac_f32 v60, 0x3f167918, v18
	v_dual_fmamk_f32 v61, v18, 0xbf737871, v1 :: v_dual_add_f32 v24, v52, v24
	v_fmac_f32_e32 v59, 0xbf167918, v18
	s_waitcnt vmcnt(6)
	v_dual_add_f32 v25, v26, v16 :: v_dual_fmac_f32 v0, 0x3e9e377a, v54
	s_delay_alu instid0(VALU_DEP_3)
	v_dual_add_f32 v19, v19, v23 :: v_dual_fmac_f32 v60, 0x3e9e377a, v24
	v_add_f32_e32 v23, v14, v2
	v_fmac_f32_e32 v61, 0x3f167918, v22
	s_waitcnt vmcnt(5)
	v_dual_fmac_f32 v59, 0x3e9e377a, v24 :: v_dual_sub_f32 v52, v28, v26
	v_sub_f32_e32 v51, v14, v16
	v_dual_fmac_f32 v1, 0x3f737871, v18 :: v_dual_add_f32 v18, v16, v23
	v_fma_f32 v25, -0.5, v25, v2
	v_dual_sub_f32 v31, v15, v29 :: v_dual_sub_f32 v24, v17, v27
	s_delay_alu instid0(VALU_DEP_3) | instskip(SKIP_3) | instid1(VALU_DEP_4)
	v_dual_fmac_f32 v61, 0x3e9e377a, v19 :: v_dual_add_f32 v18, v26, v18
	v_dual_fmac_f32 v32, 0x3e9e377a, v53 :: v_dual_fmac_f32 v55, 0x3e9e377a, v54
	v_add_f32_e32 v53, v28, v14
	v_dual_fmac_f32 v1, 0xbf167918, v22 :: v_dual_add_f32 v54, v27, v17
	v_add_f32_e32 v18, v28, v18
	v_add_f32_e32 v22, v52, v51
	v_dual_sub_f32 v52, v26, v28 :: v_dual_fmamk_f32 v23, v31, 0xbf737871, v25
	s_delay_alu instid0(VALU_DEP_4)
	v_dual_fmac_f32 v2, -0.5, v53 :: v_dual_fmac_f32 v1, 0x3e9e377a, v19
	v_fmac_f32_e32 v25, 0x3f737871, v31
	v_sub_f32_e32 v51, v16, v14
	v_fma_f32 v62, -0.5, v54, v3
	v_dual_sub_f32 v14, v14, v28 :: v_dual_add_f32 v53, v15, v3
	v_fmac_f32_e32 v23, 0xbf167918, v24
	v_fmamk_f32 v19, v24, 0x3f737871, v2
	v_fmac_f32_e32 v2, 0xbf737871, v24
	s_delay_alu instid0(VALU_DEP_4) | instskip(NEXT) | instid1(VALU_DEP_4)
	v_dual_fmac_f32 v25, 0x3f167918, v24 :: v_dual_add_f32 v24, v17, v53
	v_dual_fmac_f32 v23, 0x3e9e377a, v22 :: v_dual_add_f32 v28, v29, v15
	s_delay_alu instid0(VALU_DEP_3) | instskip(NEXT) | instid1(VALU_DEP_3)
	v_fmac_f32_e32 v2, 0x3f167918, v31
	v_dual_fmac_f32 v25, 0x3e9e377a, v22 :: v_dual_add_f32 v22, v27, v24
	v_fmamk_f32 v24, v14, 0x3f737871, v62
	v_sub_f32_e32 v16, v16, v26
	v_dual_sub_f32 v26, v15, v17 :: v_dual_fmac_f32 v19, 0xbf167918, v31
	s_delay_alu instid0(VALU_DEP_4) | instskip(SKIP_1) | instid1(VALU_DEP_4)
	v_add_f32_e32 v22, v29, v22
	v_sub_f32_e32 v31, v29, v27
	v_dual_add_f32 v51, v52, v51 :: v_dual_fmac_f32 v24, 0x3f167918, v16
	v_dual_fmac_f32 v3, -0.5, v28 :: v_dual_fmac_f32 v62, 0xbf737871, v14
	s_delay_alu instid0(VALU_DEP_2) | instskip(NEXT) | instid1(VALU_DEP_2)
	v_dual_add_f32 v26, v31, v26 :: v_dual_fmac_f32 v19, 0x3e9e377a, v51
	v_dual_sub_f32 v15, v17, v15 :: v_dual_fmamk_f32 v28, v16, 0xbf737871, v3
	s_delay_alu instid0(VALU_DEP_2) | instskip(SKIP_2) | instid1(VALU_DEP_2)
	v_dual_sub_f32 v17, v27, v29 :: v_dual_fmac_f32 v24, 0x3e9e377a, v26
	s_waitcnt vmcnt(1)
	v_dual_fmac_f32 v62, 0xbf167918, v16 :: v_dual_add_f32 v27, v6, v10
	v_dual_fmac_f32 v28, 0x3f167918, v14 :: v_dual_add_f32 v15, v17, v15
	v_fmac_f32_e32 v3, 0x3f737871, v16
	v_add_f32_e32 v16, v8, v4
	s_delay_alu instid0(VALU_DEP_4)
	v_fma_f32 v17, -0.5, v27, v4
	s_waitcnt vmcnt(0)
	v_dual_sub_f32 v27, v9, v13 :: v_dual_fmac_f32 v62, 0x3e9e377a, v26
	v_dual_fmac_f32 v28, 0x3e9e377a, v15 :: v_dual_sub_f32 v29, v8, v10
	v_dual_sub_f32 v26, v11, v7 :: v_dual_fmac_f32 v3, 0xbf167918, v14
	v_add_f32_e32 v14, v10, v16
	s_delay_alu instid0(VALU_DEP_4) | instskip(SKIP_2) | instid1(VALU_DEP_4)
	v_dual_fmamk_f32 v16, v27, 0xbf737871, v17 :: v_dual_sub_f32 v31, v12, v6
	v_fmac_f32_e32 v17, 0x3f737871, v27
	v_fmac_f32_e32 v2, 0x3e9e377a, v51
	v_dual_add_f32 v14, v6, v14 :: v_dual_add_f32 v51, v12, v8
	s_delay_alu instid0(VALU_DEP_4) | instskip(NEXT) | instid1(VALU_DEP_4)
	v_dual_fmac_f32 v16, 0xbf167918, v26 :: v_dual_add_f32 v29, v31, v29
	v_fmac_f32_e32 v17, 0x3f167918, v26
	v_add_f32_e32 v31, v7, v11
	s_delay_alu instid0(VALU_DEP_4)
	v_fmac_f32_e32 v4, -0.5, v51
	v_dual_fmac_f32 v3, 0x3e9e377a, v15 :: v_dual_add_f32 v14, v12, v14
	v_fmac_f32_e32 v16, 0x3e9e377a, v29
	v_dual_fmac_f32 v17, 0x3e9e377a, v29 :: v_dual_sub_f32 v52, v6, v12
	v_add_f32_e32 v29, v9, v5
	v_fmamk_f32 v15, v26, 0x3f737871, v4
	v_dual_fmac_f32 v4, 0xbf737871, v26 :: v_dual_sub_f32 v51, v10, v8
	v_mad_u32_u24 v63, v36, 20, 0
	s_delay_alu instid0(VALU_DEP_4) | instskip(SKIP_1) | instid1(VALU_DEP_4)
	v_add_f32_e32 v26, v11, v29
	v_fma_f32 v29, -0.5, v31, v5
	v_fmac_f32_e32 v4, 0x3f167918, v27
	v_dual_sub_f32 v8, v8, v12 :: v_dual_fmac_f32 v15, 0xbf167918, v27
	v_dual_add_f32 v12, v52, v51 :: v_dual_add_f32 v31, v13, v9
	s_delay_alu instid0(VALU_DEP_2) | instskip(NEXT) | instid1(VALU_DEP_2)
	v_dual_add_f32 v26, v7, v26 :: v_dual_fmamk_f32 v27, v8, 0x3f737871, v29
	v_dual_sub_f32 v6, v10, v6 :: v_dual_fmac_f32 v15, 0x3e9e377a, v12
	s_delay_alu instid0(VALU_DEP_3) | instskip(NEXT) | instid1(VALU_DEP_2)
	v_dual_fmac_f32 v4, 0x3e9e377a, v12 :: v_dual_fmac_f32 v5, -0.5, v31
	v_dual_sub_f32 v10, v9, v11 :: v_dual_fmac_f32 v27, 0x3f167918, v6
	v_sub_f32_e32 v12, v13, v7
	v_dual_add_f32 v26, v13, v26 :: v_dual_fmac_f32 v29, 0xbf737871, v8
	v_sub_f32_e32 v7, v7, v13
	ds_store_2addr_b32 v63, v33, v57 offset1:1
	ds_store_2addr_b32 v63, v55, v0 offset0:2 offset1:3
	ds_store_b32 v63, v32 offset:16
	v_dual_fmamk_f32 v31, v6, 0xbf737871, v5 :: v_dual_lshlrev_b32 v0, 4, v36
	v_dual_sub_f32 v9, v11, v9 :: v_dual_add_f32 v10, v12, v10
	v_fmac_f32_e32 v5, 0x3f737871, v6
	v_dual_fmac_f32 v29, 0xbf167918, v6 :: v_dual_lshlrev_b32 v56, 4, v47
	v_mad_i32_i24 v51, v47, 20, 0
	v_mad_i32_i24 v52, v48, 20, 0
	v_sub_nc_u32_e32 v53, v63, v0
	v_dual_fmac_f32 v31, 0x3f167918, v8 :: v_dual_add_f32 v6, v7, v9
	v_fmac_f32_e32 v5, 0xbf167918, v8
	v_fmac_f32_e32 v27, 0x3e9e377a, v10
	;; [unrolled: 1-line block ×3, first 2 shown]
	ds_store_2addr_b32 v51, v18, v23 offset1:1
	ds_store_2addr_b32 v51, v19, v2 offset0:2 offset1:3
	ds_store_b32 v51, v25 offset:16
	ds_store_2addr_b32 v52, v14, v16 offset1:1
	ds_store_2addr_b32 v52, v15, v4 offset0:2 offset1:3
	ds_store_b32 v52, v17 offset:16
	v_add_nc_u32_e32 v4, 0x1500, v53
	v_lshlrev_b32_e32 v55, 4, v48
	v_and_b32_e32 v10, 0xff, v36
	v_fmac_f32_e32 v31, 0x3e9e377a, v6
	v_fmac_f32_e32 v5, 0x3e9e377a, v6
	v_add_nc_u32_e32 v6, 0x1c00, v53
	v_add_nc_u32_e32 v7, 0x2a00, v53
	s_waitcnt lgkmcnt(0)
	s_barrier
	buffer_gl0_inv
	ds_load_b32 v11, v53
	ds_load_2addr_b32 v[67:68], v4 offset0:6 offset1:231
	ds_load_2addr_b32 v[69:70], v6 offset0:8 offset1:233
	;; [unrolled: 1-line block ×3, first 2 shown]
	v_add_nc_u32_e32 v9, 0xe00, v53
	v_sub_nc_u32_e32 v58, v52, v55
	v_mul_lo_u16 v0, 0xcd, v10
	v_add_nc_u32_e32 v8, 0x2300, v53
	v_sub_nc_u32_e32 v57, v51, v56
	v_lshl_add_u32 v54, v49, 2, 0
	ds_load_2addr_b32 v[73:74], v9 offset0:4 offset1:229
	ds_load_2addr_b32 v[75:76], v8 offset0:10 offset1:235
	ds_load_b32 v12, v58
	ds_load_b32 v13, v57
	;; [unrolled: 1-line block ×3, first 2 shown]
	ds_load_b32 v88, v53 offset:12600
	v_lshrrev_b16 v15, 10, v0
	v_and_b32_e32 v0, 0xffff, v47
	v_and_b32_e32 v2, 0xffff, v48
	s_waitcnt lgkmcnt(0)
	s_barrier
	buffer_gl0_inv
	v_mul_u32_u24_e32 v16, 0xcccd, v0
	v_mul_lo_u16 v14, v15, 5
	ds_store_2addr_b32 v63, v30, v60 offset1:1
	ds_store_2addr_b32 v63, v61, v1 offset0:2 offset1:3
	ds_store_b32 v63, v59 offset:16
	ds_store_2addr_b32 v51, v22, v24 offset1:1
	ds_store_2addr_b32 v51, v28, v3 offset0:2 offset1:3
	ds_store_b32 v51, v62 offset:16
	v_and_b32_e32 v15, 0xffff, v15
	v_lshrrev_b32_e32 v1, 18, v16
	v_mul_u32_u24_e32 v16, 0xcccd, v2
	v_sub_nc_u16 v14, v36, v14
	v_cmp_gt_u32_e64 s0, 0x7d, v36
	v_mul_u32_u24_e32 v15, 0x64, v15
	v_mul_lo_u16 v3, v1, 5
	v_lshrrev_b32_e32 v90, 18, v16
	v_and_b32_e32 v89, 0xff, v14
	v_mul_u32_u24_e32 v1, 0x64, v1
	s_delay_alu instid0(VALU_DEP_4) | instskip(NEXT) | instid1(VALU_DEP_4)
	v_sub_nc_u16 v3, v47, v3
	v_mul_lo_u16 v14, v90, 5
	s_delay_alu instid0(VALU_DEP_2) | instskip(NEXT) | instid1(VALU_DEP_2)
	v_and_b32_e32 v91, 0xffff, v3
	v_sub_nc_u16 v3, v48, v14
	s_delay_alu instid0(VALU_DEP_2) | instskip(NEXT) | instid1(VALU_DEP_2)
	v_lshlrev_b32_e32 v14, 5, v91
	v_and_b32_e32 v92, 0xffff, v3
	s_delay_alu instid0(VALU_DEP_1)
	v_lshlrev_b32_e32 v3, 5, v92
	v_lshlrev_b32_e32 v92, 2, v92
	ds_store_2addr_b32 v52, v26, v27 offset1:1
	ds_store_2addr_b32 v52, v31, v5 offset0:2 offset1:3
	ds_store_b32 v52, v29 offset:16
	v_lshlrev_b32_e32 v5, 5, v89
	s_waitcnt lgkmcnt(0)
	s_barrier
	buffer_gl0_inv
	s_clause 0x5
	global_load_b128 v[26:29], v14, s[4:5]
	global_load_b128 v[16:19], v5, s[4:5]
	global_load_b128 v[22:25], v5, s[4:5] offset:16
	global_load_b128 v[30:33], v14, s[4:5] offset:16
	global_load_b128 v[59:62], v3, s[4:5]
	global_load_b128 v[63:66], v3, s[4:5] offset:16
	ds_load_b32 v93, v54
	ds_load_2addr_b32 v[77:78], v4 offset0:6 offset1:231
	ds_load_2addr_b32 v[79:80], v6 offset0:8 offset1:233
	;; [unrolled: 1-line block ×5, first 2 shown]
	ds_load_b32 v14, v53
	ds_load_b32 v5, v57
	;; [unrolled: 1-line block ×3, first 2 shown]
	ds_load_b32 v94, v53 offset:12600
	s_waitcnt vmcnt(0) lgkmcnt(0)
	s_barrier
	buffer_gl0_inv
	v_mul_f32_e32 v100, v78, v29
	v_mul_f32_e32 v95, v93, v17
	v_dual_mul_f32 v17, v87, v17 :: v_dual_mul_f32 v96, v77, v19
	v_mul_f32_e32 v19, v67, v19
	v_mul_f32_e32 v97, v80, v23
	v_dual_mul_f32 v23, v70, v23 :: v_dual_mul_f32 v98, v81, v25
	v_mul_f32_e32 v25, v71, v25
	v_dual_mul_f32 v102, v82, v33 :: v_dual_mul_f32 v99, v83, v27
	v_mul_f32_e32 v104, v79, v62
	v_mul_f32_e32 v62, v69, v62
	;; [unrolled: 1-line block ×3, first 2 shown]
	s_delay_alu instid0(VALU_DEP_4)
	v_dual_fmac_f32 v102, v72, v32 :: v_dual_mul_f32 v27, v73, v27
	v_fmac_f32_e32 v95, v87, v16
	v_fma_f32 v16, v93, v16, -v17
	v_fmac_f32_e32 v96, v67, v18
	v_fma_f32 v17, v77, v18, -v19
	v_mul_f32_e32 v29, v68, v29
	v_dual_mul_f32 v66, v88, v66 :: v_dual_lshlrev_b32 v91, 2, v91
	v_fmac_f32_e32 v100, v68, v28
	v_fma_f32 v18, v80, v22, -v23
	v_fmac_f32_e32 v98, v71, v24
	v_fma_f32 v19, v81, v24, -v25
	v_mul_f32_e32 v105, v86, v64
	v_dual_mul_f32 v64, v76, v64 :: v_dual_lshlrev_b32 v89, 2, v89
	v_fmac_f32_e32 v106, v88, v65
	v_fma_f32 v23, v83, v26, -v27
	v_fma_f32 v27, v79, v61, -v62
	v_sub_f32_e32 v68, v16, v17
	v_mul_f32_e32 v33, v72, v33
	v_mul_f32_e32 v103, v84, v60
	;; [unrolled: 1-line block ×3, first 2 shown]
	v_dual_fmac_f32 v97, v70, v22 :: v_dual_sub_f32 v62, v96, v95
	v_mul_f32_e32 v101, v85, v31
	v_dual_mul_f32 v31, v75, v31 :: v_dual_fmac_f32 v104, v69, v61
	v_fma_f32 v22, v78, v28, -v29
	v_fmac_f32_e32 v99, v73, v26
	v_fma_f32 v26, v84, v59, -v60
	s_delay_alu instid0(VALU_DEP_4)
	v_fma_f32 v24, v85, v30, -v31
	v_fma_f32 v28, v86, v63, -v64
	v_add_f32_e32 v64, v14, v16
	v_fma_f32 v29, v94, v65, -v66
	v_dual_sub_f32 v60, v98, v97 :: v_dual_fmac_f32 v101, v75, v30
	v_add_f32_e32 v70, v16, v19
	v_add_f32_e32 v30, v11, v95
	v_fma_f32 v25, v82, v32, -v33
	v_sub_f32_e32 v32, v16, v19
	v_dual_sub_f32 v66, v95, v98 :: v_dual_fmac_f32 v103, v74, v59
	v_dual_sub_f32 v16, v17, v16 :: v_dual_sub_f32 v71, v18, v19
	s_delay_alu instid0(VALU_DEP_4)
	v_dual_fmac_f32 v105, v76, v63 :: v_dual_sub_f32 v74, v23, v25
	v_dual_add_f32 v31, v96, v97 :: v_dual_add_f32 v72, v13, v99
	v_dual_sub_f32 v59, v95, v96 :: v_dual_sub_f32 v80, v101, v102
	v_dual_add_f32 v61, v95, v98 :: v_dual_add_f32 v30, v30, v96
	v_dual_sub_f32 v69, v19, v18 :: v_dual_add_f32 v16, v16, v71
	v_sub_f32_e32 v63, v97, v98
	v_add_f32_e32 v65, v17, v18
	v_dual_sub_f32 v33, v17, v18 :: v_dual_sub_f32 v76, v99, v100
	v_dual_sub_f32 v67, v96, v97 :: v_dual_add_f32 v78, v99, v102
	v_dual_sub_f32 v79, v100, v99 :: v_dual_add_f32 v30, v30, v97
	v_fma_f32 v31, -0.5, v31, v11
	v_add_f32_e32 v59, v59, v60
	v_dual_fmac_f32 v11, -0.5, v61 :: v_dual_add_f32 v60, v62, v63
	s_delay_alu instid0(VALU_DEP_4)
	v_add_f32_e32 v30, v30, v98
	v_fma_f32 v61, -0.5, v65, v14
	v_dual_add_f32 v73, v100, v101 :: v_dual_fmac_f32 v14, -0.5, v70
	v_sub_f32_e32 v77, v102, v101
	v_dual_sub_f32 v75, v22, v24 :: v_dual_add_f32 v62, v68, v69
	v_fmamk_f32 v68, v32, 0xbf737871, v31
	v_add_f32_e32 v17, v64, v17
	s_delay_alu instid0(VALU_DEP_4)
	v_dual_add_f32 v65, v76, v77 :: v_dual_fmamk_f32 v76, v66, 0x3f737871, v61
	v_fma_f32 v64, -0.5, v73, v13
	v_fmac_f32_e32 v13, -0.5, v78
	v_dual_add_f32 v63, v72, v100 :: v_dual_fmac_f32 v68, 0xbf167918, v33
	v_fmamk_f32 v77, v67, 0xbf737871, v14
	v_fmac_f32_e32 v14, 0x3f737871, v67
	s_delay_alu instid0(VALU_DEP_4) | instskip(NEXT) | instid1(VALU_DEP_4)
	v_dual_fmamk_f32 v70, v75, 0x3f737871, v13 :: v_dual_add_f32 v17, v17, v18
	v_dual_add_f32 v81, v5, v23 :: v_dual_add_f32 v18, v63, v101
	v_fmamk_f32 v69, v33, 0x3f737871, v11
	v_fmac_f32_e32 v11, 0xbf737871, v33
	v_fmamk_f32 v63, v74, 0xbf737871, v64
	v_fmac_f32_e32 v64, 0x3f737871, v74
	v_fmac_f32_e32 v77, 0x3f167918, v66
	;; [unrolled: 1-line block ×4, first 2 shown]
	v_add_f32_e32 v17, v17, v19
	v_dual_fmac_f32 v31, 0x3f737871, v32 :: v_dual_add_f32 v18, v18, v102
	v_dual_fmac_f32 v11, 0x3f167918, v32 :: v_dual_fmac_f32 v76, 0x3f167918, v67
	v_fmac_f32_e32 v77, 0x3e9e377a, v16
	v_fmac_f32_e32 v14, 0x3e9e377a, v16
	v_add_f32_e32 v16, v22, v24
	v_dual_fmac_f32 v69, 0xbf167918, v32 :: v_dual_fmac_f32 v70, 0xbf167918, v74
	v_add_f32_e32 v32, v81, v22
	v_fmac_f32_e32 v61, 0xbf737871, v66
	v_dual_fmac_f32 v31, 0x3f167918, v33 :: v_dual_sub_f32 v66, v25, v24
	v_fma_f32 v16, -0.5, v16, v5
	s_delay_alu instid0(VALU_DEP_4) | instskip(SKIP_1) | instid1(VALU_DEP_4)
	v_dual_sub_f32 v33, v99, v102 :: v_dual_add_f32 v32, v32, v24
	v_fmac_f32_e32 v64, 0x3f167918, v75
	v_dual_fmac_f32 v31, 0x3e9e377a, v59 :: v_dual_fmac_f32 v76, 0x3e9e377a, v62
	v_fmac_f32_e32 v69, 0x3e9e377a, v60
	v_add_f32_e32 v19, v79, v80
	v_dual_fmamk_f32 v59, v33, 0x3f737871, v16 :: v_dual_add_f32 v32, v32, v25
	v_fmac_f32_e32 v16, 0xbf737871, v33
	s_delay_alu instid0(VALU_DEP_3) | instskip(SKIP_4) | instid1(VALU_DEP_4)
	v_dual_fmac_f32 v11, 0x3e9e377a, v60 :: v_dual_fmac_f32 v70, 0x3e9e377a, v19
	v_dual_add_f32 v60, v23, v25 :: v_dual_fmac_f32 v63, 0xbf167918, v75
	v_fmac_f32_e32 v61, 0xbf167918, v67
	v_dual_fmac_f32 v64, 0x3e9e377a, v65 :: v_dual_add_f32 v67, v103, v106
	v_fmac_f32_e32 v13, 0xbf737871, v75
	v_fmac_f32_e32 v63, 0x3e9e377a, v65
	v_dual_sub_f32 v65, v23, v22 :: v_dual_sub_f32 v22, v22, v23
	v_sub_f32_e32 v23, v24, v25
	v_dual_add_f32 v24, v104, v105 :: v_dual_fmac_f32 v61, 0x3e9e377a, v62
	v_sub_f32_e32 v62, v100, v101
	v_sub_f32_e32 v72, v26, v27
	s_delay_alu instid0(VALU_DEP_4)
	v_add_f32_e32 v22, v22, v23
	v_add_f32_e32 v23, v12, v103
	v_fma_f32 v24, -0.5, v24, v12
	v_dual_fmac_f32 v12, -0.5, v67 :: v_dual_sub_f32 v25, v26, v29
	v_dual_fmac_f32 v5, -0.5, v60 :: v_dual_fmac_f32 v16, 0xbf167918, v62
	v_add_f32_e32 v67, v3, v26
	v_fmac_f32_e32 v59, 0x3f167918, v62
	s_delay_alu instid0(VALU_DEP_3) | instskip(SKIP_2) | instid1(VALU_DEP_3)
	v_dual_sub_f32 v73, v29, v28 :: v_dual_fmamk_f32 v60, v62, 0xbf737871, v5
	v_dual_fmac_f32 v5, 0x3f737871, v62 :: v_dual_sub_f32 v62, v27, v28
	v_fmac_f32_e32 v13, 0x3f167918, v74
	v_dual_add_f32 v71, v27, v28 :: v_dual_fmac_f32 v60, 0x3f167918, v33
	s_delay_alu instid0(VALU_DEP_3) | instskip(SKIP_1) | instid1(VALU_DEP_4)
	v_fmac_f32_e32 v5, 0xbf167918, v33
	v_add3_u32 v15, 0, v15, v89
	v_fmac_f32_e32 v13, 0x3e9e377a, v19
	v_add_f32_e32 v19, v65, v66
	v_fmac_f32_e32 v60, 0x3e9e377a, v22
	v_dual_sub_f32 v66, v106, v105 :: v_dual_fmac_f32 v5, 0x3e9e377a, v22
	v_fmamk_f32 v22, v62, 0x3f737871, v12
	v_dual_fmac_f32 v12, 0xbf737871, v62 :: v_dual_sub_f32 v65, v103, v104
	v_fmac_f32_e32 v16, 0x3e9e377a, v19
	ds_store_2addr_b32 v15, v30, v68 offset1:5
	ds_store_2addr_b32 v15, v69, v11 offset0:10 offset1:15
	v_fmac_f32_e32 v22, 0xbf167918, v25
	v_dual_fmac_f32 v12, 0x3f167918, v25 :: v_dual_add_f32 v33, v65, v66
	v_dual_sub_f32 v65, v104, v103 :: v_dual_sub_f32 v66, v105, v106
	v_mul_lo_u16 v10, v10, 41
	s_delay_alu instid0(VALU_DEP_2) | instskip(SKIP_2) | instid1(VALU_DEP_4)
	v_add_f32_e32 v65, v65, v66
	v_fma_f32 v66, -0.5, v71, v3
	v_sub_f32_e32 v71, v104, v105
	v_lshrrev_b16 v10, 10, v10
	s_delay_alu instid0(VALU_DEP_4) | instskip(SKIP_4) | instid1(VALU_DEP_3)
	v_dual_fmac_f32 v12, 0x3e9e377a, v65 :: v_dual_fmac_f32 v59, 0x3e9e377a, v19
	v_add_f32_e32 v19, v23, v104
	v_fmamk_f32 v23, v25, 0xbf737871, v24
	v_fmac_f32_e32 v24, 0x3f737871, v25
	v_fmac_f32_e32 v22, 0x3e9e377a, v65
	;; [unrolled: 1-line block ×3, first 2 shown]
	s_delay_alu instid0(VALU_DEP_3) | instskip(SKIP_3) | instid1(VALU_DEP_3)
	v_fmac_f32_e32 v24, 0x3f167918, v62
	v_add_f32_e32 v62, v67, v27
	v_sub_f32_e32 v67, v103, v106
	v_add_f32_e32 v19, v19, v105
	v_dual_fmac_f32 v24, 0x3e9e377a, v33 :: v_dual_add_f32 v25, v62, v28
	v_add_f32_e32 v62, v26, v29
	v_dual_sub_f32 v26, v27, v26 :: v_dual_sub_f32 v27, v28, v29
	s_delay_alu instid0(VALU_DEP_2) | instskip(NEXT) | instid1(VALU_DEP_2)
	v_dual_fmac_f32 v3, -0.5, v62 :: v_dual_add_f32 v62, v72, v73
	v_dual_add_f32 v26, v26, v27 :: v_dual_fmac_f32 v23, 0x3e9e377a, v33
	v_fmamk_f32 v33, v67, 0x3f737871, v66
	s_delay_alu instid0(VALU_DEP_3) | instskip(SKIP_3) | instid1(VALU_DEP_4)
	v_fmamk_f32 v65, v71, 0xbf737871, v3
	v_fmac_f32_e32 v3, 0x3f737871, v71
	v_dual_fmac_f32 v66, 0xbf737871, v67 :: v_dual_add_f32 v19, v19, v106
	v_add3_u32 v27, 0, v1, v91
	v_fmac_f32_e32 v65, 0x3f167918, v67
	s_delay_alu instid0(VALU_DEP_4) | instskip(NEXT) | instid1(VALU_DEP_4)
	v_fmac_f32_e32 v3, 0xbf167918, v67
	v_fmac_f32_e32 v66, 0xbf167918, v71
	s_delay_alu instid0(VALU_DEP_3) | instskip(NEXT) | instid1(VALU_DEP_3)
	v_fmac_f32_e32 v65, 0x3e9e377a, v26
	v_fmac_f32_e32 v3, 0x3e9e377a, v26
	v_mul_u32_u24_e32 v26, 0x64, v90
	s_delay_alu instid0(VALU_DEP_4) | instskip(NEXT) | instid1(VALU_DEP_2)
	v_fmac_f32_e32 v66, 0x3e9e377a, v62
	v_add3_u32 v26, 0, v26, v92
	ds_store_b32 v15, v31 offset:80
	ds_store_2addr_b32 v27, v18, v63 offset1:5
	ds_store_2addr_b32 v27, v70, v13 offset0:10 offset1:15
	ds_store_b32 v27, v64 offset:80
	ds_store_2addr_b32 v26, v19, v23 offset1:5
	ds_store_2addr_b32 v26, v22, v12 offset0:10 offset1:15
	ds_store_b32 v26, v24 offset:80
	v_mul_u32_u24_e32 v12, 0x47af, v0
	v_mul_u32_u24_e32 v22, 0x47af, v2
	s_waitcnt lgkmcnt(0)
	s_barrier
	buffer_gl0_inv
	v_lshrrev_b32_e32 v13, 16, v12
	v_lshrrev_b32_e32 v22, 16, v22
	ds_load_b32 v1, v53
	ds_load_2addr_b32 v[18:19], v4 offset0:6 offset1:231
	ds_load_2addr_b32 v[67:68], v6 offset0:8 offset1:233
	v_fmac_f32_e32 v33, 0x3f167918, v71
	ds_load_2addr_b32 v[69:70], v7 offset0:12 offset1:237
	ds_load_2addr_b32 v[71:72], v9 offset0:4 offset1:229
	;; [unrolled: 1-line block ×3, first 2 shown]
	ds_load_b32 v11, v58
	v_sub_nc_u16 v23, v47, v13
	ds_load_b32 v12, v57
	ds_load_b32 v81, v54
	ds_load_b32 v82, v53 offset:12600
	s_waitcnt lgkmcnt(0)
	s_barrier
	buffer_gl0_inv
	ds_store_2addr_b32 v15, v77, v14 offset0:10 offset1:15
	v_sub_nc_u16 v14, v48, v22
	v_lshrrev_b16 v23, 1, v23
	ds_store_2addr_b32 v15, v17, v76 offset1:5
	ds_store_b32 v15, v61 offset:80
	v_mul_lo_u16 v15, v10, 25
	v_lshrrev_b16 v14, 1, v14
	v_add_nc_u16 v13, v23, v13
	ds_store_2addr_b32 v27, v60, v5 offset0:10 offset1:15
	v_add_f32_e32 v25, v25, v29
	v_sub_nc_u16 v5, v36, v15
	v_add_nc_u16 v14, v14, v22
	v_lshrrev_b16 v13, 4, v13
	v_fmac_f32_e32 v33, 0x3e9e377a, v62
	ds_store_2addr_b32 v27, v32, v59 offset1:5
	ds_store_b32 v27, v16 offset:80
	v_lshrrev_b16 v83, 4, v14
	v_mul_lo_u16 v15, v13, 25
	ds_store_2addr_b32 v26, v65, v3 offset0:10 offset1:15
	ds_store_2addr_b32 v26, v25, v33 offset1:5
	ds_store_b32 v26, v66 offset:80
	v_mul_lo_u16 v23, v83, 25
	v_sub_nc_u16 v3, v47, v15
	v_and_b32_e32 v5, 0xff, v5
	s_waitcnt lgkmcnt(0)
	s_barrier
	v_sub_nc_u16 v26, v48, v23
	v_and_b32_e32 v3, 0xffff, v3
	v_lshlrev_b32_e32 v22, 5, v5
	buffer_gl0_inv
	v_and_b32_e32 v13, 0xffff, v13
	v_and_b32_e32 v84, 0xffff, v26
	v_lshlrev_b32_e32 v30, 5, v3
	global_load_b128 v[14:17], v22, s[4:5] offset:160
	v_mul_u32_u24_e32 v0, 0x625, v0
	v_mul_u32_u24_e32 v13, 0x1f4, v13
	v_lshlrev_b32_e32 v63, 5, v84
	s_clause 0x4
	global_load_b128 v[26:29], v30, s[4:5] offset:160
	global_load_b128 v[22:25], v22, s[4:5] offset:176
	;; [unrolled: 1-line block ×5, first 2 shown]
	ds_load_b32 v85, v54
	ds_load_2addr_b32 v[75:76], v4 offset0:6 offset1:231
	ds_load_2addr_b32 v[77:78], v6 offset0:8 offset1:233
	;; [unrolled: 1-line block ×5, first 2 shown]
	v_lshlrev_b32_e32 v84, 2, v84
	v_lshrrev_b32_e32 v0, 16, v0
	v_mul_u32_u24_e32 v2, 0x625, v2
	v_and_b32_e32 v10, 0xffff, v10
	s_delay_alu instid0(VALU_DEP_2) | instskip(NEXT) | instid1(VALU_DEP_2)
	v_lshrrev_b32_e32 v2, 16, v2
	v_mul_u32_u24_e32 v10, 0x1f4, v10
	s_waitcnt vmcnt(5) lgkmcnt(4)
	v_mul_f32_e32 v90, v75, v17
	s_waitcnt vmcnt(4)
	v_mul_f32_e32 v94, v76, v29
	s_waitcnt vmcnt(2) lgkmcnt(2)
	v_dual_mul_f32 v96, v7, v33 :: v_dual_mul_f32 v91, v78, v23
	v_mul_f32_e32 v92, v6, v25
	v_mul_f32_e32 v25, v69, v25
	s_waitcnt vmcnt(1)
	v_mul_f32_e32 v98, v77, v62
	s_waitcnt lgkmcnt(0)
	v_dual_fmac_f32 v96, v70, v32 :: v_dual_mul_f32 v95, v8, v31
	v_mul_f32_e32 v31, v73, v31
	v_dual_fmac_f32 v91, v68, v22 :: v_dual_fmac_f32 v92, v69, v24
	v_mul_f32_e32 v89, v85, v15
	v_fma_f32 v6, v6, v24, -v25
	s_delay_alu instid0(VALU_DEP_4) | instskip(SKIP_4) | instid1(VALU_DEP_4)
	v_fma_f32 v8, v8, v30, -v31
	v_mul_f32_e32 v33, v70, v33
	v_dual_mul_f32 v15, v81, v15 :: v_dual_fmac_f32 v94, v19, v28
	v_mul_f32_e32 v97, v80, v60
	v_mul_f32_e32 v60, v72, v60
	v_fma_f32 v7, v7, v32, -v33
	v_mul_f32_e32 v29, v19, v29
	v_fmac_f32_e32 v98, v67, v61
	v_dual_sub_f32 v32, v91, v92 :: v_dual_fmac_f32 v89, v81, v14
	v_mul_f32_e32 v17, v18, v17
	v_fma_f32 v14, v85, v14, -v15
	v_fma_f32 v19, v80, v59, -v60
	v_fmac_f32_e32 v90, v18, v16
	v_sub_f32_e32 v60, v89, v92
	v_fma_f32 v15, v75, v16, -v17
	v_fma_f32 v17, v76, v28, -v29
	v_dual_mul_f32 v93, v79, v27 :: v_dual_add_f32 v24, v1, v89
	v_lshlrev_b32_e32 v87, 2, v3
	s_waitcnt vmcnt(0)
	v_mul_f32_e32 v99, v9, v64
	s_delay_alu instid0(VALU_DEP_3) | instskip(SKIP_4) | instid1(VALU_DEP_4)
	v_dual_add_f32 v76, v17, v8 :: v_dual_fmac_f32 v93, v71, v26
	v_dual_mul_f32 v27, v71, v27 :: v_dual_add_f32 v24, v24, v90
	v_mul_f32_e32 v62, v67, v62
	v_mul_f32_e32 v64, v74, v64
	v_sub_f32_e32 v80, v7, v8
	v_fma_f32 v18, v79, v26, -v27
	v_sub_f32_e32 v26, v14, v6
	v_lshlrev_b32_e32 v86, 2, v5
	ds_load_b32 v5, v53
	ds_load_b32 v4, v57
	;; [unrolled: 1-line block ×3, first 2 shown]
	ds_load_b32 v88, v53 offset:12600
	v_fmac_f32_e32 v97, v72, v59
	v_fma_f32 v9, v9, v63, -v64
	v_sub_f32_e32 v79, v18, v17
	v_add_f32_e32 v64, v14, v6
	v_add3_u32 v10, 0, v10, v86
	s_waitcnt lgkmcnt(0)
	s_barrier
	buffer_gl0_inv
	v_add_f32_e32 v75, v4, v18
	v_mul_f32_e32 v100, v88, v66
	v_mul_f32_e32 v66, v82, v66
	s_delay_alu instid0(VALU_DEP_2) | instskip(SKIP_2) | instid1(VALU_DEP_1)
	v_fmac_f32_e32 v100, v82, v65
	v_sub_f32_e32 v82, v8, v7
	v_fmac_f32_e32 v99, v74, v63
	v_sub_f32_e32 v102, v100, v99
	v_dual_mul_f32 v23, v68, v23 :: v_dual_sub_f32 v70, v93, v94
	v_sub_f32_e32 v68, v18, v7
	v_dual_add_f32 v72, v93, v96 :: v_dual_add_f32 v25, v90, v91
	s_delay_alu instid0(VALU_DEP_3)
	v_fma_f32 v16, v78, v22, -v23
	v_fma_f32 v22, v77, v61, -v62
	;; [unrolled: 1-line block ×3, first 2 shown]
	v_sub_f32_e32 v62, v14, v15
	v_add_f32_e32 v88, v98, v99
	v_sub_f32_e32 v28, v89, v90
	v_fmac_f32_e32 v95, v73, v30
	v_add_f32_e32 v30, v89, v92
	v_dual_sub_f32 v63, v6, v16 :: v_dual_add_f32 v66, v12, v93
	v_fma_f32 v25, -0.5, v25, v1
	v_sub_f32_e32 v65, v16, v6
	s_delay_alu instid0(VALU_DEP_3)
	v_dual_fmac_f32 v1, -0.5, v30 :: v_dual_add_f32 v30, v62, v63
	v_dual_sub_f32 v29, v92, v91 :: v_dual_add_f32 v62, v79, v80
	v_dual_sub_f32 v31, v90, v89 :: v_dual_add_f32 v24, v24, v91
	v_sub_f32_e32 v61, v90, v91
	v_sub_f32_e32 v89, v19, v23
	v_add_f32_e32 v81, v18, v7
	v_add_f32_e32 v33, v5, v14
	v_dual_sub_f32 v18, v17, v18 :: v_dual_add_f32 v59, v15, v16
	v_sub_f32_e32 v14, v15, v14
	v_dual_add_f32 v28, v28, v29 :: v_dual_add_f32 v29, v31, v32
	v_add_f32_e32 v31, v66, v94
	s_delay_alu instid0(VALU_DEP_4)
	v_add_f32_e32 v18, v18, v82
	v_fma_f32 v90, -0.5, v59, v5
	v_dual_fmamk_f32 v66, v26, 0xbf737871, v25 :: v_dual_sub_f32 v27, v15, v16
	v_dual_add_f32 v14, v14, v65 :: v_dual_add_f32 v15, v33, v15
	v_dual_add_f32 v67, v94, v95 :: v_dual_sub_f32 v74, v95, v96
	v_dual_sub_f32 v78, v94, v95 :: v_dual_add_f32 v85, v11, v97
	v_add_f32_e32 v24, v24, v92
	s_delay_alu instid0(VALU_DEP_4) | instskip(SKIP_3) | instid1(VALU_DEP_4)
	v_dual_add_f32 v15, v15, v16 :: v_dual_fmamk_f32 v16, v60, 0x3f737871, v90
	v_fmac_f32_e32 v90, 0xbf737871, v60
	v_fma_f32 v32, -0.5, v67, v12
	v_dual_sub_f32 v71, v96, v95 :: v_dual_fmac_f32 v12, -0.5, v72
	v_fmac_f32_e32 v16, 0x3f167918, v61
	v_fmac_f32_e32 v66, 0xbf167918, v27
	s_delay_alu instid0(VALU_DEP_4) | instskip(NEXT) | instid1(VALU_DEP_4)
	v_fmamk_f32 v72, v68, 0xbf737871, v32
	v_dual_fmac_f32 v32, 0x3f737871, v68 :: v_dual_add_f32 v33, v70, v71
	v_fma_f32 v70, -0.5, v76, v4
	v_dual_fmac_f32 v4, -0.5, v81 :: v_dual_sub_f32 v77, v93, v96
	v_sub_f32_e32 v69, v17, v8
	v_dual_add_f32 v17, v75, v17 :: v_dual_fmac_f32 v16, 0x3e9e377a, v30
	v_sub_f32_e32 v73, v94, v93
	v_sub_f32_e32 v93, v22, v9
	v_dual_sub_f32 v101, v97, v98 :: v_dual_fmac_f32 v90, 0xbf167918, v61
	s_delay_alu instid0(VALU_DEP_4) | instskip(NEXT) | instid1(VALU_DEP_4)
	v_add_f32_e32 v8, v17, v8
	v_dual_add_f32 v59, v73, v74 :: v_dual_fmac_f32 v66, 0x3e9e377a, v28
	v_fmamk_f32 v74, v78, 0xbf737871, v4
	v_fmac_f32_e32 v4, 0x3f737871, v78
	v_fmamk_f32 v17, v77, 0x3f737871, v70
	v_dual_fmac_f32 v70, 0xbf737871, v77 :: v_dual_fmac_f32 v5, -0.5, v64
	v_fmac_f32_e32 v72, 0xbf167918, v69
	v_fmac_f32_e32 v74, 0x3f167918, v77
	;; [unrolled: 1-line block ×3, first 2 shown]
	s_delay_alu instid0(VALU_DEP_4) | instskip(NEXT) | instid1(VALU_DEP_4)
	v_fmac_f32_e32 v70, 0xbf167918, v78
	v_dual_add_f32 v63, v85, v98 :: v_dual_fmac_f32 v72, 0x3e9e377a, v33
	v_fmamk_f32 v71, v61, 0xbf737871, v5
	s_delay_alu instid0(VALU_DEP_4) | instskip(NEXT) | instid1(VALU_DEP_3)
	v_dual_add_f32 v7, v8, v7 :: v_dual_fmac_f32 v4, 0x3e9e377a, v18
	v_dual_add_f32 v63, v63, v99 :: v_dual_fmac_f32 v74, 0x3e9e377a, v18
	v_add_f32_e32 v18, v3, v19
	v_fma_f32 v64, -0.5, v88, v11
	s_delay_alu instid0(VALU_DEP_3) | instskip(NEXT) | instid1(VALU_DEP_3)
	v_dual_fmac_f32 v25, 0x3f737871, v26 :: v_dual_add_f32 v8, v63, v100
	v_dual_fmac_f32 v5, 0x3f737871, v61 :: v_dual_add_f32 v18, v18, v22
	v_fmamk_f32 v73, v69, 0x3f737871, v12
	v_dual_fmac_f32 v32, 0x3f167918, v69 :: v_dual_add_f32 v65, v101, v102
	s_delay_alu instid0(VALU_DEP_3)
	v_dual_fmamk_f32 v67, v27, 0x3f737871, v1 :: v_dual_add_f32 v18, v18, v9
	v_fmamk_f32 v75, v89, 0xbf737871, v64
	v_fmac_f32_e32 v64, 0x3f737871, v89
	v_fmac_f32_e32 v25, 0x3f167918, v27
	;; [unrolled: 1-line block ×4, first 2 shown]
	v_sub_f32_e32 v27, v98, v97
	v_fmac_f32_e32 v64, 0x3f167918, v93
	v_fmac_f32_e32 v25, 0x3e9e377a, v28
	v_dual_sub_f32 v28, v99, v100 :: v_dual_fmac_f32 v67, 0xbf167918, v26
	v_dual_fmac_f32 v1, 0x3f167918, v26 :: v_dual_add_f32 v26, v22, v9
	s_delay_alu instid0(VALU_DEP_2) | instskip(SKIP_2) | instid1(VALU_DEP_4)
	v_dual_fmac_f32 v90, 0x3e9e377a, v30 :: v_dual_add_f32 v27, v27, v28
	v_dual_add_f32 v28, v19, v23 :: v_dual_add_f32 v103, v97, v100
	v_add_f32_e32 v6, v15, v6
	v_fma_f32 v76, -0.5, v26, v3
	v_dual_sub_f32 v26, v97, v100 :: v_dual_fmac_f32 v67, 0x3e9e377a, v29
	s_delay_alu instid0(VALU_DEP_4)
	v_dual_fmac_f32 v3, -0.5, v28 :: v_dual_sub_f32 v28, v23, v9
	v_fmac_f32_e32 v1, 0x3e9e377a, v29
	v_sub_f32_e32 v29, v98, v99
	v_fmac_f32_e32 v5, 0xbf167918, v60
	v_fmac_f32_e32 v17, 0x3f167918, v78
	v_fmac_f32_e32 v11, -0.5, v103
	v_fmamk_f32 v77, v26, 0x3f737871, v76
	v_fmamk_f32 v78, v29, 0xbf737871, v3
	v_fmac_f32_e32 v71, 0x3f167918, v60
	v_fmac_f32_e32 v5, 0x3e9e377a, v14
	v_dual_fmac_f32 v76, 0xbf737871, v26 :: v_dual_add_f32 v31, v31, v95
	v_fmac_f32_e32 v70, 0x3e9e377a, v62
	v_fmac_f32_e32 v78, 0x3f167918, v26
	;; [unrolled: 1-line block ×3, first 2 shown]
	v_fmamk_f32 v14, v93, 0x3f737871, v11
	v_fmac_f32_e32 v11, 0xbf737871, v93
	v_dual_sub_f32 v9, v9, v23 :: v_dual_add_nc_u32 v60, 0x1f80, v53
	v_fmac_f32_e32 v12, 0xbf737871, v69
	s_delay_alu instid0(VALU_DEP_4) | instskip(NEXT) | instid1(VALU_DEP_4)
	v_fmac_f32_e32 v14, 0xbf167918, v89
	v_fmac_f32_e32 v11, 0x3f167918, v89
	v_dual_fmac_f32 v73, 0xbf167918, v68 :: v_dual_fmac_f32 v76, 0xbf167918, v29
	s_delay_alu instid0(VALU_DEP_4) | instskip(NEXT) | instid1(VALU_DEP_4)
	v_fmac_f32_e32 v12, 0x3f167918, v68
	v_fmac_f32_e32 v14, 0x3e9e377a, v27
	s_delay_alu instid0(VALU_DEP_4) | instskip(SKIP_4) | instid1(VALU_DEP_4)
	v_fmac_f32_e32 v11, 0x3e9e377a, v27
	v_sub_f32_e32 v27, v19, v22
	v_sub_f32_e32 v19, v22, v19
	v_dual_add_f32 v18, v18, v23 :: v_dual_fmac_f32 v75, 0xbf167918, v93
	v_dual_add_f32 v15, v31, v96 :: v_dual_fmac_f32 v12, 0x3e9e377a, v59
	;; [unrolled: 1-line block ×3, first 2 shown]
	v_add_nc_u32_e32 v62, 0x1880, v53
	v_fmac_f32_e32 v3, 0x3f737871, v29
	v_add_f32_e32 v9, v19, v9
	v_add3_u32 v13, 0, v13, v87
	v_fmac_f32_e32 v73, 0x3e9e377a, v59
	v_add_nc_u32_e32 v59, 0x1180, v53
	v_fmac_f32_e32 v3, 0xbf167918, v26
	v_fmac_f32_e32 v78, 0x3e9e377a, v9
	v_fmac_f32_e32 v75, 0x3e9e377a, v65
	v_fmac_f32_e32 v64, 0x3e9e377a, v65
	s_delay_alu instid0(VALU_DEP_4)
	v_dual_fmac_f32 v76, 0x3e9e377a, v22 :: v_dual_fmac_f32 v3, 0x3e9e377a, v9
	v_and_b32_e32 v9, 0xffff, v83
	ds_store_2addr_b32 v10, v24, v66 offset1:25
	ds_store_2addr_b32 v10, v67, v1 offset0:50 offset1:75
	v_add_nc_u32_e32 v61, 0x2680, v53
	v_fmac_f32_e32 v77, 0x3f167918, v29
	v_lshl_add_u32 v63, v50, 2, 0
	v_mul_u32_u24_e32 v9, 0x1f4, v9
	s_delay_alu instid0(VALU_DEP_3) | instskip(NEXT) | instid1(VALU_DEP_2)
	v_fmac_f32_e32 v77, 0x3e9e377a, v22
	v_add3_u32 v1, 0, v9, v84
	ds_store_b32 v10, v25 offset:400
	ds_store_2addr_b32 v13, v15, v72 offset1:25
	ds_store_2addr_b32 v13, v73, v12 offset0:50 offset1:75
	ds_store_b32 v13, v32 offset:400
	ds_store_2addr_b32 v1, v8, v75 offset1:25
	ds_store_2addr_b32 v1, v14, v11 offset0:50 offset1:75
	ds_store_b32 v1, v64 offset:400
	v_add_nc_u32_e32 v64, 0x2d80, v53
	s_waitcnt lgkmcnt(0)
	s_barrier
	buffer_gl0_inv
	ds_load_2addr_b32 v[32:33], v59 offset0:5 offset1:230
	ds_load_2addr_b32 v[24:25], v60 offset0:9 offset1:234
	;; [unrolled: 1-line block ×4, first 2 shown]
	ds_load_b32 v68, v53
	ds_load_b32 v65, v54
	ds_load_2addr_b32 v[28:29], v64 offset0:13 offset1:238
	ds_load_b32 v67, v58
	ds_load_b32 v69, v57
	;; [unrolled: 1-line block ×3, first 2 shown]
	s_waitcnt lgkmcnt(0)
	s_barrier
	buffer_gl0_inv
	ds_store_2addr_b32 v10, v6, v16 offset1:25
	ds_store_2addr_b32 v10, v71, v5 offset0:50 offset1:75
	ds_store_b32 v10, v90 offset:400
	v_add_nc_u32_e32 v6, 0xffffff83, v36
	v_and_b32_e32 v79, 0xffff, v50
	s_delay_alu instid0(VALU_DEP_2) | instskip(NEXT) | instid1(VALU_DEP_2)
	v_cndmask_b32_e64 v80, v6, v36, s0
	v_mul_u32_u24_e32 v5, 0x625, v79
	s_delay_alu instid0(VALU_DEP_2)
	v_lshlrev_b32_e32 v22, 1, v80
	v_lshlrev_b32_e32 v80, 2, v80
	ds_store_2addr_b32 v13, v7, v17 offset1:25
	ds_store_2addr_b32 v13, v74, v4 offset0:50 offset1:75
	ds_store_b32 v13, v70 offset:400
	ds_store_2addr_b32 v1, v18, v77 offset1:25
	v_and_b32_e32 v70, 0xffff, v49
	ds_store_2addr_b32 v1, v78, v3 offset0:50 offset1:75
	ds_store_b32 v1, v76 offset:400
	v_sub_nc_u16 v1, v47, v0
	v_sub_nc_u16 v4, v48, v2
	v_lshrrev_b32_e32 v5, 16, v5
	v_mul_u32_u24_e32 v3, 0x625, v70
	s_waitcnt lgkmcnt(0)
	v_lshrrev_b16 v1, 1, v1
	s_barrier
	buffer_gl0_inv
	v_lshrrev_b32_e32 v3, 16, v3
	v_add_nc_u16 v0, v1, v0
	v_lshrrev_b16 v1, 1, v4
	s_delay_alu instid0(VALU_DEP_3) | instskip(NEXT) | instid1(VALU_DEP_3)
	v_sub_nc_u16 v4, v49, v3
	v_lshrrev_b16 v71, 6, v0
	s_delay_alu instid0(VALU_DEP_3) | instskip(SKIP_1) | instid1(VALU_DEP_4)
	v_add_nc_u16 v0, v1, v2
	v_sub_nc_u16 v2, v50, v5
	v_lshrrev_b16 v1, 1, v4
	s_delay_alu instid0(VALU_DEP_4) | instskip(NEXT) | instid1(VALU_DEP_4)
	v_mul_lo_u16 v4, 0x7d, v71
	v_lshrrev_b16 v72, 6, v0
	v_and_b32_e32 v71, 0xffff, v71
	s_delay_alu instid0(VALU_DEP_4)
	v_add_nc_u16 v0, v1, v3
	v_lshrrev_b16 v1, 1, v2
	v_sub_nc_u16 v2, v47, v4
	v_mul_lo_u16 v3, 0x7d, v72
	v_mov_b32_e32 v23, 0
	v_lshrrev_b16 v73, 6, v0
	v_add_nc_u16 v4, v1, v5
	v_and_b32_e32 v74, 0xffff, v2
	v_sub_nc_u16 v2, v48, v3
	v_lshlrev_b64 v[0:1], 3, v[22:23]
	v_mul_lo_u16 v3, 0x7d, v73
	v_lshrrev_b16 v76, 6, v4
	v_lshlrev_b32_e32 v6, 4, v74
	v_and_b32_e32 v75, 0xffff, v2
	v_mul_u32_u24_e32 v22, 0x5d87, v70
	v_sub_nc_u16 v5, v49, v3
	v_add_co_u32 v0, s0, s4, v0
	s_delay_alu instid0(VALU_DEP_1) | instskip(NEXT) | instid1(VALU_DEP_3)
	v_add_co_ci_u32_e64 v1, s0, s5, v1, s0
	v_and_b32_e32 v77, 0xffff, v5
	v_lshlrev_b32_e32 v5, 4, v75
	s_clause 0x1
	global_load_b128 v[8:11], v6, s[4:5] offset:960
	global_load_b128 v[0:3], v[0:1], off offset:960
	v_mul_lo_u16 v4, 0x7d, v76
	v_lshrrev_b32_e32 v83, 16, v22
	global_load_b128 v[16:19], v5, s[4:5] offset:960
	v_and_b32_e32 v76, 0xffff, v76
	v_and_b32_e32 v72, 0xffff, v72
	v_sub_nc_u16 v4, v50, v4
	v_sub_nc_u16 v84, v49, v83
	v_lshlrev_b32_e32 v90, 2, v75
	v_mul_u32_u24_e32 v89, 0x5dc, v76
	v_lshlrev_b32_e32 v76, 2, v74
	v_and_b32_e32 v78, 0xffff, v4
	v_lshlrev_b32_e32 v4, 4, v77
	v_lshrrev_b16 v84, 1, v84
	v_and_b32_e32 v73, 0xffff, v73
	v_cmp_lt_u32_e64 s0, 0x7c, v36
	v_lshlrev_b32_e32 v5, 4, v78
	s_clause 0x1
	global_load_b128 v[12:15], v4, s[4:5] offset:960
	global_load_b128 v[4:7], v5, s[4:5] offset:960
	v_add_nc_u16 v87, v84, v83
	v_mul_u32_u24_e32 v83, 0x5dc, v71
	v_mul_u32_u24_e32 v84, 0x5dc, v72
	ds_load_2addr_b32 v[71:72], v59 offset0:5 offset1:230
	v_mul_u32_u24_e32 v88, 0x5dc, v73
	ds_load_2addr_b32 v[73:74], v60 offset0:9 offset1:234
	v_add3_u32 v93, 0, v83, v76
	ds_load_2addr_b32 v[75:76], v61 offset0:11 offset1:236
	v_add3_u32 v90, 0, v84, v90
	v_cndmask_b32_e64 v81, 0, 0x5dc, s0
	v_cmp_gt_u32_e64 s0, 0x96, v36
	v_lshlrev_b32_e32 v22, 1, v36
	s_delay_alu instid0(VALU_DEP_3) | instskip(NEXT) | instid1(VALU_DEP_2)
	v_add3_u32 v80, 0, v81, v80
	v_lshlrev_b64 v[81:82], 3, v[22:23]
	v_add_nc_u32_e32 v22, 0x96, v22
	s_waitcnt vmcnt(4) lgkmcnt(0)
	v_mul_f32_e32 v100, v75, v11
	s_waitcnt vmcnt(3)
	v_dual_mul_f32 v97, v71, v1 :: v_dual_lshlrev_b32 v92, 2, v78
	v_mul_f32_e32 v98, v74, v3
	s_waitcnt vmcnt(2)
	v_mul_f32_e32 v102, v76, v19
	v_dual_fmac_f32 v100, v26, v10 :: v_dual_mul_f32 v1, v32, v1
	v_add3_u32 v89, 0, v89, v92
	v_fmac_f32_e32 v98, v25, v2
	s_delay_alu instid0(VALU_DEP_4)
	v_dual_fmac_f32 v102, v27, v18 :: v_dual_lshlrev_b32 v91, 2, v77
	ds_load_2addr_b32 v[77:78], v62 offset0:7 offset1:232
	v_mul_f32_e32 v3, v25, v3
	v_add3_u32 v88, 0, v88, v91
	ds_load_b32 v91, v53
	ds_load_b32 v92, v54
	ds_load_2addr_b32 v[83:84], v64 offset0:13 offset1:238
	ds_load_b32 v94, v58
	ds_load_b32 v95, v57
	;; [unrolled: 1-line block ×3, first 2 shown]
	v_fmac_f32_e32 v97, v32, v0
	v_fma_f32 v0, v71, v0, -v1
	v_fma_f32 v1, v74, v2, -v3
	s_waitcnt vmcnt(0) lgkmcnt(0)
	v_mul_f32_e32 v105, v73, v5
	s_barrier
	buffer_gl0_inv
	v_fmac_f32_e32 v105, v24, v4
	s_delay_alu instid0(VALU_DEP_1) | instskip(SKIP_3) | instid1(VALU_DEP_4)
	v_dual_add_f32 v71, v66, v105 :: v_dual_mul_f32 v104, v83, v15
	v_mul_f32_e32 v106, v84, v7
	v_mul_f32_e32 v7, v29, v7
	;; [unrolled: 1-line block ×3, first 2 shown]
	v_fmac_f32_e32 v104, v28, v14
	s_delay_alu instid0(VALU_DEP_4) | instskip(SKIP_1) | instid1(VALU_DEP_2)
	v_dual_mul_f32 v5, v24, v5 :: v_dual_fmac_f32 v106, v29, v6
	v_mul_f32_e32 v11, v26, v11
	v_fma_f32 v4, v73, v4, -v5
	v_fma_f32 v5, v84, v6, -v7
	v_dual_add_f32 v6, v68, v97 :: v_dual_add_f32 v7, v97, v98
	v_mul_f32_e32 v103, v78, v13
	v_mul_f32_e32 v13, v31, v13
	v_fma_f32 v3, v75, v10, -v11
	s_delay_alu instid0(VALU_DEP_4)
	v_add_f32_e32 v6, v6, v98
	v_fma_f32 v11, v83, v14, -v15
	v_sub_f32_e32 v73, v4, v5
	v_fma_f32 v10, v78, v12, -v13
	v_dual_fmac_f32 v68, -0.5, v7 :: v_dual_fmac_f32 v103, v31, v12
	v_mul_f32_e32 v99, v72, v9
	s_delay_alu instid0(VALU_DEP_3) | instskip(SKIP_3) | instid1(VALU_DEP_4)
	v_dual_mul_f32 v9, v33, v9 :: v_dual_add_f32 v32, v92, v10
	v_mul_u32_u24_e32 v70, 0x5d87, v79
	v_mul_f32_e32 v101, v77, v17
	v_mul_f32_e32 v19, v27, v19
	v_fma_f32 v2, v72, v8, -v9
	v_add_nc_u32_e32 v79, 0xffffff6a, v36
	v_sub_f32_e32 v31, v10, v11
	v_add_f32_e32 v10, v10, v11
	v_lshrrev_b32_e32 v85, 16, v70
	v_dual_mul_f32 v17, v30, v17 :: v_dual_add_f32 v74, v96, v4
	v_sub_f32_e32 v12, v0, v1
	v_add_f32_e32 v72, v105, v106
	v_add_f32_e32 v4, v4, v5
	v_dual_fmac_f32 v92, -0.5, v10 :: v_dual_fmac_f32 v101, v30, v16
	v_add_f32_e32 v30, v103, v104
	v_fmac_f32_e32 v99, v33, v8
	v_fma_f32 v8, v76, v18, -v19
	v_add_f32_e32 v18, v95, v2
	v_cndmask_b32_e64 v70, v79, v47, s0
	v_fma_f32 v9, v77, v16, -v17
	v_dual_sub_f32 v14, v97, v98 :: v_dual_add_f32 v13, v91, v0
	s_delay_alu instid0(VALU_DEP_3)
	v_dual_add_f32 v0, v0, v1 :: v_dual_lshlrev_b32 v79, 1, v70
	v_dual_sub_f32 v17, v2, v3 :: v_dual_fmac_f32 v96, -0.5, v4
	v_add_f32_e32 v2, v2, v3
	v_fmac_f32_e32 v66, -0.5, v72
	v_fmamk_f32 v4, v12, 0xbf5db3d7, v68
	v_dual_add_f32 v16, v99, v100 :: v_dual_add_f32 v15, v69, v99
	v_fmac_f32_e32 v68, 0x3f5db3d7, v12
	v_fmac_f32_e32 v91, -0.5, v0
	v_add_f32_e32 v3, v18, v3
	s_delay_alu instid0(VALU_DEP_4)
	v_fmac_f32_e32 v69, -0.5, v16
	v_sub_f32_e32 v19, v99, v100
	v_dual_fmac_f32 v95, -0.5, v2 :: v_dual_fmamk_f32 v18, v73, 0xbf5db3d7, v66
	v_dual_fmac_f32 v66, 0x3f5db3d7, v73 :: v_dual_sub_f32 v75, v105, v106
	v_sub_f32_e32 v33, v103, v104
	v_dual_sub_f32 v26, v9, v8 :: v_dual_add_f32 v5, v74, v5
	v_fmamk_f32 v12, v17, 0xbf5db3d7, v69
	v_dual_fmac_f32 v69, 0x3f5db3d7, v17 :: v_dual_lshlrev_b32 v74, 2, v70
	v_dual_fmamk_f32 v10, v14, 0x3f5db3d7, v91 :: v_dual_add_f32 v1, v13, v1
	v_fmamk_f32 v13, v19, 0x3f5db3d7, v95
	v_fmac_f32_e32 v95, 0xbf5db3d7, v19
	v_fmamk_f32 v19, v75, 0x3f5db3d7, v96
	v_fmac_f32_e32 v96, 0xbf5db3d7, v75
	v_fmamk_f32 v17, v33, 0x3f5db3d7, v92
	v_dual_fmac_f32 v92, 0xbf5db3d7, v33 :: v_dual_add_f32 v25, v101, v102
	v_sub_nc_u16 v86, v50, v85
	v_dual_sub_f32 v28, v101, v102 :: v_dual_add_f32 v27, v94, v9
	v_add_f32_e32 v29, v65, v103
	v_fmac_f32_e32 v65, -0.5, v30
	v_dual_add_f32 v9, v9, v8 :: v_dual_add_f32 v24, v67, v101
	v_fmac_f32_e32 v67, -0.5, v25
	v_lshrrev_b16 v86, 1, v86
	s_delay_alu instid0(VALU_DEP_4) | instskip(NEXT) | instid1(VALU_DEP_4)
	v_fmamk_f32 v16, v31, 0xbf5db3d7, v65
	v_fmac_f32_e32 v94, -0.5, v9
	v_add_f32_e32 v0, v15, v100
	v_add_f32_e32 v2, v24, v102
	v_fmac_f32_e32 v91, 0xbf5db3d7, v14
	v_dual_fmamk_f32 v14, v26, 0xbf5db3d7, v67 :: v_dual_add_f32 v9, v71, v106
	v_fmac_f32_e32 v67, 0x3f5db3d7, v26
	v_fmamk_f32 v15, v28, 0x3f5db3d7, v94
	v_fmac_f32_e32 v94, 0xbf5db3d7, v28
	v_add_f32_e32 v7, v27, v8
	v_dual_add_f32 v8, v29, v104 :: v_dual_fmac_f32 v65, 0x3f5db3d7, v31
	ds_store_2addr_b32 v80, v6, v4 offset1:125
	ds_store_b32 v80, v68 offset:1000
	ds_store_2addr_b32 v93, v0, v12 offset1:125
	ds_store_b32 v93, v69 offset:1000
	;; [unrolled: 2-line block ×5, first 2 shown]
	v_add_nc_u16 v2, v86, v85
	v_lshrrev_b16 v67, 8, v87
	v_add_f32_e32 v11, v32, v11
	s_waitcnt lgkmcnt(0)
	s_barrier
	buffer_gl0_inv
	ds_load_2addr_b32 v[8:9], v59 offset0:5 offset1:230
	ds_load_2addr_b32 v[28:29], v60 offset0:9 offset1:234
	;; [unrolled: 1-line block ×4, first 2 shown]
	ds_load_b32 v77, v53
	ds_load_b32 v78, v54
	ds_load_2addr_b32 v[65:66], v64 offset0:13 offset1:238
	ds_load_b32 v83, v58
	ds_load_b32 v84, v57
	;; [unrolled: 1-line block ×3, first 2 shown]
	s_waitcnt lgkmcnt(0)
	s_barrier
	buffer_gl0_inv
	ds_store_2addr_b32 v80, v1, v10 offset1:125
	ds_store_b32 v80, v91 offset:1000
	ds_store_2addr_b32 v93, v3, v13 offset1:125
	ds_store_b32 v93, v95 offset:1000
	;; [unrolled: 2-line block ×5, first 2 shown]
	v_mov_b32_e32 v80, v23
	v_lshrrev_b16 v2, 8, v2
	v_mul_lo_u16 v3, 0x177, v67
	v_add_co_u32 v10, s0, s4, v81
	s_delay_alu instid0(VALU_DEP_4) | instskip(NEXT) | instid1(VALU_DEP_4)
	v_lshlrev_b64 v[0:1], 3, v[79:80]
	v_mul_lo_u16 v13, 0x177, v2
	s_delay_alu instid0(VALU_DEP_4) | instskip(SKIP_2) | instid1(VALU_DEP_4)
	v_sub_nc_u16 v12, v49, v3
	v_add_co_ci_u32_e64 v11, s0, s5, v82, s0
	v_lshlrev_b64 v[4:5], 3, v[22:23]
	v_sub_nc_u16 v14, v50, v13
	v_add_co_u32 v6, s0, s4, v0
	s_delay_alu instid0(VALU_DEP_1) | instskip(SKIP_1) | instid1(VALU_DEP_4)
	v_add_co_ci_u32_e64 v7, s0, s5, v1, s0
	v_and_b32_e32 v22, 0xffff, v12
	v_and_b32_e32 v75, 0xffff, v14
	v_add_co_u32 v12, s0, s4, v4
	s_waitcnt lgkmcnt(0)
	s_barrier
	buffer_gl0_inv
	global_load_b128 v[0:3], v[10:11], off offset:2960
	v_add_co_ci_u32_e64 v13, s0, s5, v5, s0
	global_load_b128 v[4:7], v[6:7], off offset:2960
	v_lshlrev_b32_e32 v16, 4, v22
	v_lshlrev_b32_e32 v24, 4, v75
	s_clause 0x2
	global_load_b128 v[12:15], v[12:13], off offset:2960
	global_load_b128 v[16:19], v16, s[4:5] offset:2960
	global_load_b128 v[24:27], v24, s[4:5] offset:2960
	v_cmp_lt_u32_e64 s0, 0x95, v36
	v_and_b32_e32 v71, 0xffff, v67
	ds_load_2addr_b32 v[69:70], v60 offset0:9 offset1:234
	v_lshlrev_b32_e32 v22, 2, v22
	ds_load_2addr_b32 v[67:68], v59 offset0:5 offset1:230
	v_cndmask_b32_e64 v73, 0, 0x1194, s0
	v_mul_u32_u24_e32 v76, 0x1194, v71
	ds_load_2addr_b32 v[71:72], v61 offset0:11 offset1:236
	v_lshl_add_u32 v81, v75, 2, 0
	v_lshl_add_u32 v79, v36, 2, 0
	v_add3_u32 v80, 0, v73, v74
	ds_load_2addr_b32 v[73:74], v62 offset0:7 offset1:232
	v_add3_u32 v22, 0, v76, v22
	ds_load_b32 v82, v57
	ds_load_b32 v85, v58
	ds_load_2addr_b32 v[75:76], v64 offset0:13 offset1:238
	ds_load_b32 v86, v53
	ds_load_b32 v87, v54
	;; [unrolled: 1-line block ×3, first 2 shown]
	s_waitcnt vmcnt(0) lgkmcnt(0)
	s_barrier
	buffer_gl0_inv
	v_mul_f32_e32 v90, v70, v3
	v_mul_f32_e32 v92, v71, v7
	s_delay_alu instid0(VALU_DEP_2) | instskip(SKIP_2) | instid1(VALU_DEP_4)
	v_dual_mul_f32 v7, v30, v7 :: v_dual_fmac_f32 v90, v29, v2
	v_dual_mul_f32 v93, v73, v13 :: v_dual_mul_f32 v94, v72, v15
	v_mul_f32_e32 v96, v75, v19
	v_fmac_f32_e32 v92, v30, v6
	v_mul_f32_e32 v95, v74, v17
	v_mul_f32_e32 v98, v69, v25
	;; [unrolled: 1-line block ×4, first 2 shown]
	v_dual_fmac_f32 v93, v32, v12 :: v_dual_fmac_f32 v94, v31, v14
	v_mul_f32_e32 v89, v67, v1
	v_fmac_f32_e32 v95, v33, v16
	v_dual_fmac_f32 v96, v65, v18 :: v_dual_mul_f32 v1, v8, v1
	v_mul_f32_e32 v3, v29, v3
	v_mul_f32_e32 v13, v32, v13
	;; [unrolled: 1-line block ×3, first 2 shown]
	v_dual_mul_f32 v27, v66, v27 :: v_dual_sub_f32 v30, v93, v94
	v_fmac_f32_e32 v89, v8, v0
	v_fma_f32 v8, v69, v24, -v25
	v_add_f32_e32 v32, v95, v96
	v_fma_f32 v0, v67, v0, -v1
	v_dual_fmac_f32 v99, v66, v26 :: v_dual_sub_f32 v66, v95, v96
	v_fma_f32 v1, v70, v2, -v3
	v_dual_mul_f32 v19, v65, v19 :: v_dual_add_f32 v70, v88, v8
	v_fma_f32 v3, v71, v6, -v7
	v_fma_f32 v6, v74, v16, -v17
	v_fmac_f32_e32 v98, v28, v24
	s_delay_alu instid0(VALU_DEP_4)
	v_fma_f32 v7, v75, v18, -v19
	v_mul_f32_e32 v91, v68, v5
	v_mul_f32_e32 v5, v9, v5
	v_add_f32_e32 v65, v87, v6
	v_add_f32_e32 v67, v97, v98
	v_sub_f32_e32 v33, v6, v7
	v_dual_add_f32 v6, v6, v7 :: v_dual_fmac_f32 v91, v9, v4
	v_fma_f32 v9, v76, v26, -v27
	v_mul_f32_e32 v15, v31, v15
	v_fma_f32 v2, v68, v4, -v5
	s_delay_alu instid0(VALU_DEP_4) | instskip(NEXT) | instid1(VALU_DEP_4)
	v_dual_add_f32 v26, v83, v93 :: v_dual_fmac_f32 v87, -0.5, v6
	v_sub_f32_e32 v69, v8, v9
	v_add_f32_e32 v8, v8, v9
	v_fma_f32 v5, v72, v14, -v15
	v_dual_add_f32 v15, v86, v0 :: v_dual_sub_f32 v14, v0, v1
	v_add_f32_e32 v0, v0, v1
	v_add_f32_e32 v24, v82, v2
	v_fmac_f32_e32 v88, -0.5, v8
	s_delay_alu instid0(VALU_DEP_4)
	v_dual_add_f32 v72, v15, v1 :: v_dual_add_f32 v1, v26, v94
	v_dual_add_f32 v26, v70, v9 :: v_dual_add_f32 v17, v84, v91
	v_add_f32_e32 v18, v91, v92
	v_fmac_f32_e32 v86, -0.5, v0
	v_fma_f32 v4, v73, v12, -v13
	v_sub_f32_e32 v25, v91, v92
	v_dual_add_f32 v0, v17, v92 :: v_dual_add_f32 v17, v24, v3
	v_add_f32_e32 v24, v65, v7
	v_dual_sub_f32 v16, v89, v90 :: v_dual_sub_f32 v19, v2, v3
	v_dual_add_f32 v2, v2, v3 :: v_dual_add_f32 v13, v89, v90
	v_dual_add_f32 v29, v85, v4 :: v_dual_fmac_f32 v84, -0.5, v18
	v_sub_f32_e32 v28, v4, v5
	s_delay_alu instid0(VALU_DEP_3) | instskip(SKIP_1) | instid1(VALU_DEP_4)
	v_fmac_f32_e32 v82, -0.5, v2
	v_add_f32_e32 v4, v4, v5
	v_dual_add_f32 v18, v29, v5 :: v_dual_fmamk_f32 v5, v19, 0xbf5db3d7, v84
	v_dual_fmac_f32 v84, 0x3f5db3d7, v19 :: v_dual_add_f32 v27, v93, v94
	s_delay_alu instid0(VALU_DEP_4)
	v_fmamk_f32 v19, v25, 0x3f5db3d7, v82
	v_dual_fmac_f32 v82, 0xbf5db3d7, v25 :: v_dual_add_f32 v31, v78, v95
	v_fmac_f32_e32 v78, -0.5, v32
	v_add_f32_e32 v68, v98, v99
	v_add_f32_e32 v12, v77, v89
	v_fmac_f32_e32 v77, -0.5, v13
	v_fmac_f32_e32 v83, -0.5, v27
	;; [unrolled: 1-line block ×3, first 2 shown]
	s_delay_alu instid0(VALU_DEP_4) | instskip(NEXT) | instid1(VALU_DEP_4)
	v_dual_fmac_f32 v97, -0.5, v68 :: v_dual_add_f32 v12, v12, v90
	v_fmamk_f32 v4, v14, 0xbf5db3d7, v77
	v_fmac_f32_e32 v77, 0x3f5db3d7, v14
	s_delay_alu instid0(VALU_DEP_3)
	v_dual_add_f32 v3, v67, v99 :: v_dual_fmamk_f32 v8, v69, 0xbf5db3d7, v97
	v_add_f32_e32 v2, v31, v96
	v_dual_fmamk_f32 v6, v28, 0xbf5db3d7, v83 :: v_dual_fmamk_f32 v7, v33, 0xbf5db3d7, v78
	v_fmamk_f32 v27, v16, 0x3f5db3d7, v86
	v_fmac_f32_e32 v86, 0xbf5db3d7, v16
	v_dual_fmac_f32 v83, 0x3f5db3d7, v28 :: v_dual_fmac_f32 v78, 0x3f5db3d7, v33
	v_fmac_f32_e32 v97, 0x3f5db3d7, v69
	ds_store_b32 v53, v12
	ds_store_b32 v53, v4 offset:1500
	ds_store_b32 v53, v77 offset:3000
	ds_store_b32 v80, v0
	ds_store_b32 v80, v5 offset:1500
	ds_store_b32 v80, v84 offset:3000
	;; [unrolled: 1-line block ×5, first 2 shown]
	ds_store_b32 v22, v2
	ds_store_b32 v22, v7 offset:1500
	ds_store_b32 v22, v78 offset:3000
	;; [unrolled: 1-line block ×5, first 2 shown]
	s_waitcnt lgkmcnt(0)
	s_barrier
	buffer_gl0_inv
	ds_load_2addr_b32 v[0:1], v59 offset0:5 offset1:230
	ds_load_2addr_b32 v[2:3], v60 offset0:9 offset1:234
	;; [unrolled: 1-line block ×4, first 2 shown]
	ds_load_b32 v12, v53
	ds_load_b32 v15, v54
	ds_load_2addr_b32 v[8:9], v64 offset0:13 offset1:238
	ds_load_b32 v14, v58
	ds_load_b32 v13, v57
	;; [unrolled: 1-line block ×3, first 2 shown]
	v_sub_f32_e32 v71, v98, v99
	v_fmamk_f32 v25, v30, 0x3f5db3d7, v85
	v_fmac_f32_e32 v85, 0xbf5db3d7, v30
	v_fmamk_f32 v28, v66, 0x3f5db3d7, v87
	v_fmac_f32_e32 v87, 0xbf5db3d7, v66
	v_fmamk_f32 v29, v71, 0x3f5db3d7, v88
	v_fmac_f32_e32 v88, 0xbf5db3d7, v71
	s_waitcnt lgkmcnt(0)
	s_barrier
	buffer_gl0_inv
	ds_store_b32 v53, v72
	ds_store_b32 v53, v27 offset:1500
	ds_store_b32 v53, v86 offset:3000
	ds_store_b32 v80, v17
	ds_store_b32 v80, v19 offset:1500
	ds_store_b32 v80, v82 offset:3000
	;; [unrolled: 1-line block ×5, first 2 shown]
	ds_store_b32 v22, v24
	ds_store_b32 v22, v28 offset:1500
	ds_store_b32 v22, v87 offset:3000
	ds_store_b32 v81, v26 offset:9000
	ds_store_b32 v81, v29 offset:10500
	ds_store_b32 v81, v88 offset:12000
	s_waitcnt lgkmcnt(0)
	s_barrier
	buffer_gl0_inv
	s_and_saveexec_b32 s0, vcc_lo
	s_cbranch_execz .LBB0_15
; %bb.14:
	v_lshlrev_b32_e32 v22, 1, v50
	v_mad_u64_u32 v[57:58], null, s8, v44, 0
	v_sub_nc_u32_e32 v85, 0, v56
	v_sub_nc_u32_e32 v86, 0, v55
	s_delay_alu instid0(VALU_DEP_4)
	v_lshlrev_b64 v[17:18], 3, v[22:23]
	v_lshlrev_b32_e32 v22, 1, v49
	v_mad_u64_u32 v[73:74], null, s8, v35, 0
	v_add_nc_u32_e32 v85, v51, v85
	v_mov_b32_e32 v51, v58
	v_add_co_u32 v17, vcc_lo, s4, v17
	v_add_co_ci_u32_e32 v18, vcc_lo, s5, v18, vcc_lo
	v_lshlrev_b64 v[28:29], 3, v[22:23]
	s_delay_alu instid0(VALU_DEP_3) | instskip(NEXT) | instid1(VALU_DEP_3)
	v_add_co_u32 v17, vcc_lo, 0x2000, v17
	v_add_co_ci_u32_e32 v18, vcc_lo, 0, v18, vcc_lo
	v_lshlrev_b32_e32 v22, 1, v48
	v_mad_u64_u32 v[77:78], null, s8, v40, 0
	global_load_b128 v[24:27], v[17:18], off offset:768
	v_add_co_u32 v17, vcc_lo, s4, v28
	v_add_co_ci_u32_e32 v18, vcc_lo, s5, v29, vcc_lo
	v_lshlrev_b64 v[32:33], 3, v[22:23]
	s_delay_alu instid0(VALU_DEP_3) | instskip(NEXT) | instid1(VALU_DEP_3)
	v_add_co_u32 v17, vcc_lo, 0x2000, v17
	v_add_co_ci_u32_e32 v18, vcc_lo, 0, v18, vcc_lo
	v_lshlrev_b32_e32 v22, 1, v47
	v_mad_u64_u32 v[83:84], null, s8, v39, 0
	global_load_b128 v[28:31], v[17:18], off offset:768
	v_add_co_u32 v17, vcc_lo, s4, v32
	v_add_co_ci_u32_e32 v18, vcc_lo, s5, v33, vcc_lo
	v_lshlrev_b64 v[22:23], 3, v[22:23]
	s_delay_alu instid0(VALU_DEP_3) | instskip(NEXT) | instid1(VALU_DEP_3)
	v_add_co_u32 v17, vcc_lo, 0x2000, v17
	v_add_co_ci_u32_e32 v18, vcc_lo, 0, v18, vcc_lo
	v_mad_u64_u32 v[79:80], null, s8, v34, 0
	v_mul_hi_u32 v87, 0xe90452d5, v37
	global_load_b128 v[47:50], v[17:18], off offset:768
	v_add_co_u32 v17, vcc_lo, s4, v22
	v_add_co_ci_u32_e32 v18, vcc_lo, s5, v23, vcc_lo
	v_mad_u64_u32 v[75:76], null, s8, v41, 0
	s_delay_alu instid0(VALU_DEP_3) | instskip(NEXT) | instid1(VALU_DEP_3)
	v_add_co_u32 v17, vcc_lo, 0x2000, v17
	v_add_co_ci_u32_e32 v18, vcc_lo, 0, v18, vcc_lo
	v_add_co_u32 v10, vcc_lo, 0x2000, v10
	v_add_co_ci_u32_e32 v11, vcc_lo, 0, v11, vcc_lo
	s_clause 0x1
	global_load_b128 v[65:68], v[17:18], off offset:768
	global_load_b128 v[69:72], v[10:11], off offset:768
	ds_load_2addr_b32 v[10:11], v60 offset0:9 offset1:234
	ds_load_2addr_b32 v[17:18], v64 offset0:13 offset1:238
	;; [unrolled: 1-line block ×5, first 2 shown]
	ds_load_b32 v89, v63
	ds_load_b32 v90, v54
	;; [unrolled: 1-line block ×3, first 2 shown]
	v_mad_u64_u32 v[53:54], null, s8, v36, 0
	v_mad_u64_u32 v[59:60], null, s8, v38, 0
	;; [unrolled: 1-line block ×4, first 2 shown]
	v_add_co_u32 v92, vcc_lo, s10, v20
	v_mad_u64_u32 v[19:20], null, s8, v46, 0
	v_add_co_ci_u32_e32 v93, vcc_lo, s11, v21, vcc_lo
	v_dual_mov_b32 v21, v54 :: v_dual_add_nc_u32 v86, v52, v86
	v_mad_u64_u32 v[81:82], null, s8, v42, 0
	v_mov_b32_e32 v52, v60
	v_mov_b32_e32 v54, v62
	;; [unrolled: 1-line block ×6, first 2 shown]
	ds_load_b32 v94, v86
	ds_load_b32 v95, v85
	s_waitcnt lgkmcnt(7)
	v_mad_u64_u32 v[84:85], null, s9, v36, v[21:22]
	v_mov_b32_e32 v74, v80
	v_lshrrev_b32_e32 v80, 10, v87
	v_mad_u64_u32 v[85:86], null, s9, v46, v[20:21]
	v_mad_u64_u32 v[86:87], null, s9, v44, v[51:52]
	v_mov_b32_e32 v62, v76
	v_mad_u64_u32 v[87:88], null, s9, v38, v[52:53]
	s_waitcnt lgkmcnt(5)
	v_mad_u64_u32 v[51:52], null, s9, v43, v[54:55]
	v_mad_u64_u32 v[43:44], null, s9, v45, v[58:59]
	v_mov_b32_e32 v76, v82
	v_mad_u64_u32 v[44:45], null, s9, v35, v[60:61]
	v_mad_u64_u32 v[35:36], null, s9, v41, v[62:63]
	v_mov_b32_e32 v62, v51
	s_delay_alu instid0(VALU_DEP_1)
	v_lshlrev_b64 v[51:52], 3, v[61:62]
	s_waitcnt vmcnt(1)
	v_mad_u64_u32 v[45:46], null, s9, v40, v[64:65]
	v_mad_u32_u24 v46, 0x8ca, v80, v37
	v_mad_u64_u32 v[36:37], null, s9, v42, v[76:77]
	v_mad_u64_u32 v[37:38], null, s9, v39, v[78:79]
	s_delay_alu instid0(VALU_DEP_3) | instskip(SKIP_4) | instid1(VALU_DEP_4)
	v_mad_u64_u32 v[38:39], null, s8, v46, 0
	v_add_nc_u32_e32 v88, 0x465, v46
	v_mov_b32_e32 v78, v45
	v_mad_u64_u32 v[40:41], null, s9, v34, v[74:75]
	v_mov_b32_e32 v76, v35
	v_mad_u64_u32 v[34:35], null, s8, v88, 0
	v_dual_mov_b32 v21, v39 :: v_dual_add_nc_u32 v96, 0x8ca, v46
	v_lshlrev_b64 v[61:62], 3, v[77:78]
	v_mov_b32_e32 v80, v40
	v_mov_b32_e32 v82, v36
	s_delay_alu instid0(VALU_DEP_4) | instskip(SKIP_3) | instid1(VALU_DEP_2)
	v_mad_u64_u32 v[77:78], null, s9, v46, v[21:22]
	v_mul_f32_e32 v46, v9, v27
	v_mul_f32_e32 v27, v18, v27
	v_mov_b32_e32 v21, v35
	v_dual_fmac_f32 v27, v9, v26 :: v_dual_mov_b32 v54, v84
	v_dual_mov_b32 v64, v43 :: v_dual_mul_f32 v9, v8, v31
	v_mov_b32_e32 v39, v77
	v_mov_b32_e32 v84, v37
	s_delay_alu instid0(VALU_DEP_4) | instskip(NEXT) | instid1(VALU_DEP_4)
	v_lshlrev_b64 v[40:41], 3, v[53:54]
	v_lshlrev_b64 v[53:54], 3, v[63:64]
	v_lshlrev_b64 v[63:64], 3, v[79:80]
	v_mad_u64_u32 v[78:79], null, s9, v88, v[21:22]
	v_mul_f32_e32 v21, v2, v25
	v_mul_f32_e32 v25, v10, v25
	v_add_co_u32 v40, vcc_lo, v92, v40
	v_add_co_ci_u32_e32 v41, vcc_lo, v93, v41, vcc_lo
	s_delay_alu instid0(VALU_DEP_4) | instskip(NEXT) | instid1(VALU_DEP_4)
	v_fma_f32 v10, v10, v24, -v21
	v_dual_fmac_f32 v25, v2, v24 :: v_dual_mul_f32 v2, v7, v29
	v_dual_mul_f32 v21, v23, v29 :: v_dual_mov_b32 v74, v44
	v_mul_f32_e32 v24, v17, v31
	v_fma_f32 v17, v17, v30, -v9
	s_delay_alu instid0(VALU_DEP_4) | instskip(NEXT) | instid1(VALU_DEP_4)
	v_fma_f32 v2, v23, v28, -v2
	v_fmac_f32_e32 v21, v7, v28
	v_dual_mul_f32 v23, v6, v48 :: v_dual_mul_f32 v28, v5, v50
	v_fmac_f32_e32 v24, v8, v30
	v_mul_f32_e32 v30, v22, v48
	v_mul_f32_e32 v48, v33, v50
	s_delay_alu instid0(VALU_DEP_4) | instskip(SKIP_4) | instid1(VALU_DEP_3)
	v_fma_f32 v22, v22, v47, -v23
	v_fma_f32 v23, v33, v49, -v28
	v_dual_mul_f32 v33, v32, v68 :: v_dual_mov_b32 v60, v87
	v_fma_f32 v18, v18, v26, -v46
	v_sub_f32_e32 v29, v25, v27
	v_dual_fmac_f32 v48, v5, v49 :: v_dual_fmac_f32 v33, v4, v67
	v_fmac_f32_e32 v30, v6, v47
	v_dual_add_f32 v46, v25, v27 :: v_dual_add_f32 v25, v16, v25
	v_dual_mov_b32 v20, v85 :: v_dual_sub_f32 v77, v10, v18
	s_waitcnt lgkmcnt(4)
	v_dual_mov_b32 v58, v86 :: v_dual_add_f32 v31, v89, v10
	s_delay_alu instid0(VALU_DEP_3) | instskip(SKIP_3) | instid1(VALU_DEP_4)
	v_fma_f32 v7, -0.5, v46, v16
	v_dual_add_f32 v26, v10, v18 :: v_dual_add_f32 v9, v25, v27
	v_mul_f32_e32 v27, v1, v66
	v_sub_f32_e32 v25, v21, v24
	v_fmamk_f32 v5, v77, 0x3f5db3d7, v7
	v_fmac_f32_e32 v7, 0xbf5db3d7, v77
	v_fma_f32 v8, -0.5, v26, v89
	v_fma_f32 v27, v56, v65, -v27
	v_dual_add_f32 v26, v21, v24 :: v_dual_add_f32 v21, v15, v21
	v_add_f32_e32 v10, v31, v18
	v_mul_f32_e32 v31, v56, v66
	v_lshlrev_b64 v[19:20], 3, v[19:20]
	v_lshlrev_b64 v[42:43], 3, v[57:58]
	;; [unrolled: 1-line block ×3, first 2 shown]
	s_waitcnt lgkmcnt(3)
	v_dual_add_f32 v18, v90, v2 :: v_dual_fmac_f32 v31, v1, v65
	v_mul_f32_e32 v28, v4, v68
	v_add_co_u32 v19, vcc_lo, v92, v19
	v_add_co_ci_u32_e32 v20, vcc_lo, v93, v20, vcc_lo
	s_waitcnt vmcnt(0)
	v_mul_f32_e32 v47, v3, v72
	v_mul_f32_e32 v49, v55, v70
	v_fma_f32 v15, -0.5, v26, v15
	v_add_f32_e32 v16, v2, v17
	v_fma_f32 v28, v32, v67, -v28
	v_sub_f32_e32 v2, v2, v17
	v_add_co_u32 v42, vcc_lo, v92, v42
	v_add_co_ci_u32_e32 v43, vcc_lo, v93, v43, vcc_lo
	v_add_co_u32 v44, vcc_lo, v92, v44
	v_mad_u64_u32 v[36:37], null, s8, v96, 0
	v_mul_f32_e32 v46, v0, v70
	v_dual_fmac_f32 v49, v0, v69 :: v_dual_mul_f32 v50, v11, v72
	v_fma_f32 v11, v11, v71, -v47
	v_dual_sub_f32 v47, v27, v28 :: v_dual_fmamk_f32 v0, v2, 0x3f5db3d7, v15
	v_fmac_f32_e32 v15, 0xbf5db3d7, v2
	v_fma_f32 v16, -0.5, v16, v90
	v_add_co_ci_u32_e32 v45, vcc_lo, v93, v45, vcc_lo
	v_lshlrev_b64 v[57:58], 3, v[73:74]
	v_add_co_u32 v51, vcc_lo, v92, v51
	v_add_co_ci_u32_e32 v52, vcc_lo, v93, v52, vcc_lo
	v_lshlrev_b64 v[59:60], 3, v[75:76]
	v_add_co_u32 v53, vcc_lo, v92, v53
	v_fmamk_f32 v6, v29, 0xbf5db3d7, v8
	v_fmac_f32_e32 v50, v3, v71
	v_dual_fmac_f32 v8, 0x3f5db3d7, v29 :: v_dual_add_f32 v29, v30, v48
	v_dual_fmamk_f32 v1, v25, 0xbf5db3d7, v16 :: v_dual_add_f32 v18, v18, v17
	v_add_f32_e32 v17, v21, v24
	v_add_f32_e32 v21, v22, v23
	v_add_co_ci_u32_e32 v54, vcc_lo, v93, v54, vcc_lo
	v_mov_b32_e32 v35, v37
	v_add_co_u32 v57, vcc_lo, v92, v57
	v_add_co_ci_u32_e32 v58, vcc_lo, v93, v58, vcc_lo
	s_waitcnt lgkmcnt(1)
	v_add_f32_e32 v24, v94, v22
	v_fma_f32 v3, -0.5, v21, v94
	v_fma_f32 v2, -0.5, v29, v14
	v_dual_add_f32 v29, v31, v33 :: v_dual_sub_f32 v26, v30, v48
	v_add_f32_e32 v30, v14, v30
	v_add_co_u32 v59, vcc_lo, v92, v59
	v_add_co_ci_u32_e32 v60, vcc_lo, v93, v60, vcc_lo
	v_mad_u64_u32 v[79:80], null, s9, v96, v[35:36]
	v_lshlrev_b64 v[73:74], 3, v[81:82]
	v_add_co_u32 v61, vcc_lo, v92, v61
	v_fmac_f32_e32 v16, 0x3f5db3d7, v25
	v_add_f32_e32 v14, v27, v28
	s_waitcnt lgkmcnt(0)
	v_add_f32_e32 v25, v95, v27
	v_add_f32_e32 v27, v13, v31
	v_fma_f32 v13, -0.5, v29, v13
	v_sub_f32_e32 v66, v22, v23
	v_add_f32_e32 v22, v24, v23
	v_fmamk_f32 v24, v26, 0xbf5db3d7, v3
	v_fmac_f32_e32 v3, 0x3f5db3d7, v26
	v_add_f32_e32 v21, v30, v48
	v_fma_f32 v4, v55, v69, -v46
	v_add_co_ci_u32_e32 v62, vcc_lo, v93, v62, vcc_lo
	v_lshlrev_b64 v[75:76], 3, v[83:84]
	v_add_co_u32 v63, vcc_lo, v92, v63
	v_mov_b32_e32 v35, v78
	v_add_co_ci_u32_e32 v64, vcc_lo, v93, v64, vcc_lo
	v_add_co_u32 v73, vcc_lo, v92, v73
	v_lshlrev_b64 v[38:39], 3, v[38:39]
	v_add_f32_e32 v30, v4, v11
	v_dual_add_f32 v48, v49, v50 :: v_dual_mov_b32 v37, v79
	v_add_co_ci_u32_e32 v74, vcc_lo, v93, v74, vcc_lo
	v_add_co_u32 v75, vcc_lo, v92, v75
	v_lshlrev_b64 v[34:35], 3, v[34:35]
	v_dual_sub_f32 v46, v31, v33 :: v_dual_sub_f32 v31, v49, v50
	v_dual_add_f32 v32, v91, v4 :: v_dual_add_f32 v49, v12, v49
	v_add_co_ci_u32_e32 v76, vcc_lo, v93, v76, vcc_lo
	v_sub_f32_e32 v4, v4, v11
	v_dual_add_f32 v26, v25, v28 :: v_dual_add_f32 v25, v27, v33
	v_fma_f32 v28, -0.5, v30, v91
	v_fma_f32 v27, -0.5, v48, v12
	v_lshlrev_b64 v[36:37], 3, v[36:37]
	v_add_co_u32 v38, vcc_lo, v92, v38
	v_add_co_ci_u32_e32 v39, vcc_lo, v93, v39, vcc_lo
	v_fma_f32 v14, -0.5, v14, v95
	v_add_co_u32 v34, vcc_lo, v92, v34
	v_dual_add_f32 v30, v32, v11 :: v_dual_add_f32 v29, v49, v50
	v_fmamk_f32 v32, v31, 0xbf5db3d7, v28
	v_dual_fmac_f32 v28, 0x3f5db3d7, v31 :: v_dual_fmamk_f32 v31, v4, 0x3f5db3d7, v27
	v_fmac_f32_e32 v27, 0xbf5db3d7, v4
	v_add_co_ci_u32_e32 v35, vcc_lo, v93, v35, vcc_lo
	v_add_co_u32 v36, vcc_lo, v92, v36
	v_fmamk_f32 v12, v46, 0xbf5db3d7, v14
	v_dual_fmac_f32 v14, 0x3f5db3d7, v46 :: v_dual_fmamk_f32 v11, v47, 0x3f5db3d7, v13
	v_fmamk_f32 v23, v66, 0x3f5db3d7, v2
	v_fmac_f32_e32 v13, 0xbf5db3d7, v47
	v_add_co_ci_u32_e32 v37, vcc_lo, v93, v37, vcc_lo
	v_fmac_f32_e32 v2, 0xbf5db3d7, v66
	s_clause 0xe
	global_store_b64 v[40:41], v[29:30], off
	global_store_b64 v[19:20], v[27:28], off
	;; [unrolled: 1-line block ×15, first 2 shown]
.LBB0_15:
	s_nop 0
	s_sendmsg sendmsg(MSG_DEALLOC_VGPRS)
	s_endpgm
	.section	.rodata,"a",@progbits
	.p2align	6, 0x0
	.amdhsa_kernel fft_rtc_back_len3375_factors_5_5_5_3_3_3_wgs_225_tpt_225_halfLds_sp_ip_CI_sbrr_dirReg
		.amdhsa_group_segment_fixed_size 0
		.amdhsa_private_segment_fixed_size 0
		.amdhsa_kernarg_size 88
		.amdhsa_user_sgpr_count 15
		.amdhsa_user_sgpr_dispatch_ptr 0
		.amdhsa_user_sgpr_queue_ptr 0
		.amdhsa_user_sgpr_kernarg_segment_ptr 1
		.amdhsa_user_sgpr_dispatch_id 0
		.amdhsa_user_sgpr_private_segment_size 0
		.amdhsa_wavefront_size32 1
		.amdhsa_uses_dynamic_stack 0
		.amdhsa_enable_private_segment 0
		.amdhsa_system_sgpr_workgroup_id_x 1
		.amdhsa_system_sgpr_workgroup_id_y 0
		.amdhsa_system_sgpr_workgroup_id_z 0
		.amdhsa_system_sgpr_workgroup_info 0
		.amdhsa_system_vgpr_workitem_id 0
		.amdhsa_next_free_vgpr 107
		.amdhsa_next_free_sgpr 23
		.amdhsa_reserve_vcc 1
		.amdhsa_float_round_mode_32 0
		.amdhsa_float_round_mode_16_64 0
		.amdhsa_float_denorm_mode_32 3
		.amdhsa_float_denorm_mode_16_64 3
		.amdhsa_dx10_clamp 1
		.amdhsa_ieee_mode 1
		.amdhsa_fp16_overflow 0
		.amdhsa_workgroup_processor_mode 1
		.amdhsa_memory_ordered 1
		.amdhsa_forward_progress 0
		.amdhsa_shared_vgpr_count 0
		.amdhsa_exception_fp_ieee_invalid_op 0
		.amdhsa_exception_fp_denorm_src 0
		.amdhsa_exception_fp_ieee_div_zero 0
		.amdhsa_exception_fp_ieee_overflow 0
		.amdhsa_exception_fp_ieee_underflow 0
		.amdhsa_exception_fp_ieee_inexact 0
		.amdhsa_exception_int_div_zero 0
	.end_amdhsa_kernel
	.text
.Lfunc_end0:
	.size	fft_rtc_back_len3375_factors_5_5_5_3_3_3_wgs_225_tpt_225_halfLds_sp_ip_CI_sbrr_dirReg, .Lfunc_end0-fft_rtc_back_len3375_factors_5_5_5_3_3_3_wgs_225_tpt_225_halfLds_sp_ip_CI_sbrr_dirReg
                                        ; -- End function
	.section	.AMDGPU.csdata,"",@progbits
; Kernel info:
; codeLenInByte = 12848
; NumSgprs: 25
; NumVgprs: 107
; ScratchSize: 0
; MemoryBound: 0
; FloatMode: 240
; IeeeMode: 1
; LDSByteSize: 0 bytes/workgroup (compile time only)
; SGPRBlocks: 3
; VGPRBlocks: 13
; NumSGPRsForWavesPerEU: 25
; NumVGPRsForWavesPerEU: 107
; Occupancy: 12
; WaveLimiterHint : 1
; COMPUTE_PGM_RSRC2:SCRATCH_EN: 0
; COMPUTE_PGM_RSRC2:USER_SGPR: 15
; COMPUTE_PGM_RSRC2:TRAP_HANDLER: 0
; COMPUTE_PGM_RSRC2:TGID_X_EN: 1
; COMPUTE_PGM_RSRC2:TGID_Y_EN: 0
; COMPUTE_PGM_RSRC2:TGID_Z_EN: 0
; COMPUTE_PGM_RSRC2:TIDIG_COMP_CNT: 0
	.text
	.p2alignl 7, 3214868480
	.fill 96, 4, 3214868480
	.type	__hip_cuid_ee1a5a03a5aec42c,@object ; @__hip_cuid_ee1a5a03a5aec42c
	.section	.bss,"aw",@nobits
	.globl	__hip_cuid_ee1a5a03a5aec42c
__hip_cuid_ee1a5a03a5aec42c:
	.byte	0                               ; 0x0
	.size	__hip_cuid_ee1a5a03a5aec42c, 1

	.ident	"AMD clang version 19.0.0git (https://github.com/RadeonOpenCompute/llvm-project roc-6.4.0 25133 c7fe45cf4b819c5991fe208aaa96edf142730f1d)"
	.section	".note.GNU-stack","",@progbits
	.addrsig
	.addrsig_sym __hip_cuid_ee1a5a03a5aec42c
	.amdgpu_metadata
---
amdhsa.kernels:
  - .args:
      - .actual_access:  read_only
        .address_space:  global
        .offset:         0
        .size:           8
        .value_kind:     global_buffer
      - .offset:         8
        .size:           8
        .value_kind:     by_value
      - .actual_access:  read_only
        .address_space:  global
        .offset:         16
        .size:           8
        .value_kind:     global_buffer
      - .actual_access:  read_only
        .address_space:  global
        .offset:         24
        .size:           8
        .value_kind:     global_buffer
      - .offset:         32
        .size:           8
        .value_kind:     by_value
      - .actual_access:  read_only
        .address_space:  global
        .offset:         40
        .size:           8
        .value_kind:     global_buffer
      - .actual_access:  read_only
        .address_space:  global
        .offset:         48
        .size:           8
        .value_kind:     global_buffer
      - .offset:         56
        .size:           4
        .value_kind:     by_value
      - .actual_access:  read_only
        .address_space:  global
        .offset:         64
        .size:           8
        .value_kind:     global_buffer
      - .actual_access:  read_only
        .address_space:  global
        .offset:         72
        .size:           8
        .value_kind:     global_buffer
      - .address_space:  global
        .offset:         80
        .size:           8
        .value_kind:     global_buffer
    .group_segment_fixed_size: 0
    .kernarg_segment_align: 8
    .kernarg_segment_size: 88
    .language:       OpenCL C
    .language_version:
      - 2
      - 0
    .max_flat_workgroup_size: 225
    .name:           fft_rtc_back_len3375_factors_5_5_5_3_3_3_wgs_225_tpt_225_halfLds_sp_ip_CI_sbrr_dirReg
    .private_segment_fixed_size: 0
    .sgpr_count:     25
    .sgpr_spill_count: 0
    .symbol:         fft_rtc_back_len3375_factors_5_5_5_3_3_3_wgs_225_tpt_225_halfLds_sp_ip_CI_sbrr_dirReg.kd
    .uniform_work_group_size: 1
    .uses_dynamic_stack: false
    .vgpr_count:     107
    .vgpr_spill_count: 0
    .wavefront_size: 32
    .workgroup_processor_mode: 1
amdhsa.target:   amdgcn-amd-amdhsa--gfx1100
amdhsa.version:
  - 1
  - 2
...

	.end_amdgpu_metadata
